;; amdgpu-corpus repo=ROCm/rocFFT kind=compiled arch=gfx1100 opt=O3
	.text
	.amdgcn_target "amdgcn-amd-amdhsa--gfx1100"
	.amdhsa_code_object_version 6
	.protected	fft_rtc_fwd_len1176_factors_2_2_2_3_7_7_wgs_56_tpt_56_halfLds_dp_ip_CI_unitstride_sbrr_R2C_dirReg ; -- Begin function fft_rtc_fwd_len1176_factors_2_2_2_3_7_7_wgs_56_tpt_56_halfLds_dp_ip_CI_unitstride_sbrr_R2C_dirReg
	.globl	fft_rtc_fwd_len1176_factors_2_2_2_3_7_7_wgs_56_tpt_56_halfLds_dp_ip_CI_unitstride_sbrr_R2C_dirReg
	.p2align	8
	.type	fft_rtc_fwd_len1176_factors_2_2_2_3_7_7_wgs_56_tpt_56_halfLds_dp_ip_CI_unitstride_sbrr_R2C_dirReg,@function
fft_rtc_fwd_len1176_factors_2_2_2_3_7_7_wgs_56_tpt_56_halfLds_dp_ip_CI_unitstride_sbrr_R2C_dirReg: ; @fft_rtc_fwd_len1176_factors_2_2_2_3_7_7_wgs_56_tpt_56_halfLds_dp_ip_CI_unitstride_sbrr_R2C_dirReg
; %bb.0:
	s_clause 0x2
	s_load_b128 s[4:7], s[0:1], 0x0
	s_load_b64 s[8:9], s[0:1], 0x50
	s_load_b64 s[10:11], s[0:1], 0x18
	v_mul_u32_u24_e32 v1, 0x493, v0
	v_mov_b32_e32 v3, 0
	v_mov_b32_e32 v4, 0
	s_delay_alu instid0(VALU_DEP_3) | instskip(SKIP_1) | instid1(VALU_DEP_1)
	v_lshrrev_b32_e32 v2, 16, v1
	v_mov_b32_e32 v1, 0
	v_dual_mov_b32 v6, v1 :: v_dual_add_nc_u32 v5, s15, v2
	s_waitcnt lgkmcnt(0)
	v_cmp_lt_u64_e64 s2, s[6:7], 2
	s_delay_alu instid0(VALU_DEP_1)
	s_and_b32 vcc_lo, exec_lo, s2
	s_cbranch_vccnz .LBB0_8
; %bb.1:
	s_load_b64 s[2:3], s[0:1], 0x10
	v_mov_b32_e32 v3, 0
	s_add_u32 s12, s10, 8
	v_mov_b32_e32 v4, 0
	s_addc_u32 s13, s11, 0
	s_mov_b64 s[16:17], 1
	s_waitcnt lgkmcnt(0)
	s_add_u32 s14, s2, 8
	s_addc_u32 s15, s3, 0
.LBB0_2:                                ; =>This Inner Loop Header: Depth=1
	s_load_b64 s[18:19], s[14:15], 0x0
                                        ; implicit-def: $vgpr7_vgpr8
	s_mov_b32 s2, exec_lo
	s_waitcnt lgkmcnt(0)
	v_or_b32_e32 v2, s19, v6
	s_delay_alu instid0(VALU_DEP_1)
	v_cmpx_ne_u64_e32 0, v[1:2]
	s_xor_b32 s3, exec_lo, s2
	s_cbranch_execz .LBB0_4
; %bb.3:                                ;   in Loop: Header=BB0_2 Depth=1
	v_cvt_f32_u32_e32 v2, s18
	v_cvt_f32_u32_e32 v7, s19
	s_sub_u32 s2, 0, s18
	s_subb_u32 s20, 0, s19
	s_delay_alu instid0(VALU_DEP_1) | instskip(NEXT) | instid1(VALU_DEP_1)
	v_fmac_f32_e32 v2, 0x4f800000, v7
	v_rcp_f32_e32 v2, v2
	s_waitcnt_depctr 0xfff
	v_mul_f32_e32 v2, 0x5f7ffffc, v2
	s_delay_alu instid0(VALU_DEP_1) | instskip(NEXT) | instid1(VALU_DEP_1)
	v_mul_f32_e32 v7, 0x2f800000, v2
	v_trunc_f32_e32 v7, v7
	s_delay_alu instid0(VALU_DEP_1) | instskip(SKIP_1) | instid1(VALU_DEP_2)
	v_fmac_f32_e32 v2, 0xcf800000, v7
	v_cvt_u32_f32_e32 v7, v7
	v_cvt_u32_f32_e32 v2, v2
	s_delay_alu instid0(VALU_DEP_2) | instskip(NEXT) | instid1(VALU_DEP_2)
	v_mul_lo_u32 v8, s2, v7
	v_mul_hi_u32 v9, s2, v2
	v_mul_lo_u32 v10, s20, v2
	s_delay_alu instid0(VALU_DEP_2) | instskip(SKIP_1) | instid1(VALU_DEP_2)
	v_add_nc_u32_e32 v8, v9, v8
	v_mul_lo_u32 v9, s2, v2
	v_add_nc_u32_e32 v8, v8, v10
	s_delay_alu instid0(VALU_DEP_2) | instskip(NEXT) | instid1(VALU_DEP_2)
	v_mul_hi_u32 v10, v2, v9
	v_mul_lo_u32 v11, v2, v8
	v_mul_hi_u32 v12, v2, v8
	v_mul_hi_u32 v13, v7, v9
	v_mul_lo_u32 v9, v7, v9
	v_mul_hi_u32 v14, v7, v8
	v_mul_lo_u32 v8, v7, v8
	v_add_co_u32 v10, vcc_lo, v10, v11
	v_add_co_ci_u32_e32 v11, vcc_lo, 0, v12, vcc_lo
	s_delay_alu instid0(VALU_DEP_2) | instskip(NEXT) | instid1(VALU_DEP_2)
	v_add_co_u32 v9, vcc_lo, v10, v9
	v_add_co_ci_u32_e32 v9, vcc_lo, v11, v13, vcc_lo
	v_add_co_ci_u32_e32 v10, vcc_lo, 0, v14, vcc_lo
	s_delay_alu instid0(VALU_DEP_2) | instskip(NEXT) | instid1(VALU_DEP_2)
	v_add_co_u32 v8, vcc_lo, v9, v8
	v_add_co_ci_u32_e32 v9, vcc_lo, 0, v10, vcc_lo
	s_delay_alu instid0(VALU_DEP_2) | instskip(NEXT) | instid1(VALU_DEP_2)
	v_add_co_u32 v2, vcc_lo, v2, v8
	v_add_co_ci_u32_e32 v7, vcc_lo, v7, v9, vcc_lo
	s_delay_alu instid0(VALU_DEP_2) | instskip(SKIP_1) | instid1(VALU_DEP_3)
	v_mul_hi_u32 v8, s2, v2
	v_mul_lo_u32 v10, s20, v2
	v_mul_lo_u32 v9, s2, v7
	s_delay_alu instid0(VALU_DEP_1) | instskip(SKIP_1) | instid1(VALU_DEP_2)
	v_add_nc_u32_e32 v8, v8, v9
	v_mul_lo_u32 v9, s2, v2
	v_add_nc_u32_e32 v8, v8, v10
	s_delay_alu instid0(VALU_DEP_2) | instskip(NEXT) | instid1(VALU_DEP_2)
	v_mul_hi_u32 v10, v2, v9
	v_mul_lo_u32 v11, v2, v8
	v_mul_hi_u32 v12, v2, v8
	v_mul_hi_u32 v13, v7, v9
	v_mul_lo_u32 v9, v7, v9
	v_mul_hi_u32 v14, v7, v8
	v_mul_lo_u32 v8, v7, v8
	v_add_co_u32 v10, vcc_lo, v10, v11
	v_add_co_ci_u32_e32 v11, vcc_lo, 0, v12, vcc_lo
	s_delay_alu instid0(VALU_DEP_2) | instskip(NEXT) | instid1(VALU_DEP_2)
	v_add_co_u32 v9, vcc_lo, v10, v9
	v_add_co_ci_u32_e32 v9, vcc_lo, v11, v13, vcc_lo
	v_add_co_ci_u32_e32 v10, vcc_lo, 0, v14, vcc_lo
	s_delay_alu instid0(VALU_DEP_2) | instskip(NEXT) | instid1(VALU_DEP_2)
	v_add_co_u32 v8, vcc_lo, v9, v8
	v_add_co_ci_u32_e32 v9, vcc_lo, 0, v10, vcc_lo
	s_delay_alu instid0(VALU_DEP_2) | instskip(NEXT) | instid1(VALU_DEP_2)
	v_add_co_u32 v2, vcc_lo, v2, v8
	v_add_co_ci_u32_e32 v13, vcc_lo, v7, v9, vcc_lo
	s_delay_alu instid0(VALU_DEP_2) | instskip(SKIP_1) | instid1(VALU_DEP_3)
	v_mul_hi_u32 v14, v5, v2
	v_mad_u64_u32 v[9:10], null, v6, v2, 0
	v_mad_u64_u32 v[7:8], null, v5, v13, 0
	;; [unrolled: 1-line block ×3, first 2 shown]
	s_delay_alu instid0(VALU_DEP_2) | instskip(NEXT) | instid1(VALU_DEP_3)
	v_add_co_u32 v2, vcc_lo, v14, v7
	v_add_co_ci_u32_e32 v7, vcc_lo, 0, v8, vcc_lo
	s_delay_alu instid0(VALU_DEP_2) | instskip(NEXT) | instid1(VALU_DEP_2)
	v_add_co_u32 v2, vcc_lo, v2, v9
	v_add_co_ci_u32_e32 v2, vcc_lo, v7, v10, vcc_lo
	v_add_co_ci_u32_e32 v7, vcc_lo, 0, v12, vcc_lo
	s_delay_alu instid0(VALU_DEP_2) | instskip(NEXT) | instid1(VALU_DEP_2)
	v_add_co_u32 v2, vcc_lo, v2, v11
	v_add_co_ci_u32_e32 v9, vcc_lo, 0, v7, vcc_lo
	s_delay_alu instid0(VALU_DEP_2) | instskip(SKIP_1) | instid1(VALU_DEP_3)
	v_mul_lo_u32 v10, s19, v2
	v_mad_u64_u32 v[7:8], null, s18, v2, 0
	v_mul_lo_u32 v11, s18, v9
	s_delay_alu instid0(VALU_DEP_2) | instskip(NEXT) | instid1(VALU_DEP_2)
	v_sub_co_u32 v7, vcc_lo, v5, v7
	v_add3_u32 v8, v8, v11, v10
	s_delay_alu instid0(VALU_DEP_1) | instskip(NEXT) | instid1(VALU_DEP_1)
	v_sub_nc_u32_e32 v10, v6, v8
	v_subrev_co_ci_u32_e64 v10, s2, s19, v10, vcc_lo
	v_add_co_u32 v11, s2, v2, 2
	s_delay_alu instid0(VALU_DEP_1) | instskip(SKIP_3) | instid1(VALU_DEP_3)
	v_add_co_ci_u32_e64 v12, s2, 0, v9, s2
	v_sub_co_u32 v13, s2, v7, s18
	v_sub_co_ci_u32_e32 v8, vcc_lo, v6, v8, vcc_lo
	v_subrev_co_ci_u32_e64 v10, s2, 0, v10, s2
	v_cmp_le_u32_e32 vcc_lo, s18, v13
	s_delay_alu instid0(VALU_DEP_3) | instskip(SKIP_1) | instid1(VALU_DEP_4)
	v_cmp_eq_u32_e64 s2, s19, v8
	v_cndmask_b32_e64 v13, 0, -1, vcc_lo
	v_cmp_le_u32_e32 vcc_lo, s19, v10
	v_cndmask_b32_e64 v14, 0, -1, vcc_lo
	v_cmp_le_u32_e32 vcc_lo, s18, v7
	;; [unrolled: 2-line block ×3, first 2 shown]
	v_cndmask_b32_e64 v15, 0, -1, vcc_lo
	v_cmp_eq_u32_e32 vcc_lo, s19, v10
	s_delay_alu instid0(VALU_DEP_2) | instskip(SKIP_3) | instid1(VALU_DEP_3)
	v_cndmask_b32_e64 v7, v15, v7, s2
	v_cndmask_b32_e32 v10, v14, v13, vcc_lo
	v_add_co_u32 v13, vcc_lo, v2, 1
	v_add_co_ci_u32_e32 v14, vcc_lo, 0, v9, vcc_lo
	v_cmp_ne_u32_e32 vcc_lo, 0, v10
	s_delay_alu instid0(VALU_DEP_2) | instskip(NEXT) | instid1(VALU_DEP_4)
	v_cndmask_b32_e32 v8, v14, v12, vcc_lo
	v_cndmask_b32_e32 v10, v13, v11, vcc_lo
	v_cmp_ne_u32_e32 vcc_lo, 0, v7
	s_delay_alu instid0(VALU_DEP_2)
	v_dual_cndmask_b32 v7, v2, v10 :: v_dual_cndmask_b32 v8, v9, v8
.LBB0_4:                                ;   in Loop: Header=BB0_2 Depth=1
	s_and_not1_saveexec_b32 s2, s3
	s_cbranch_execz .LBB0_6
; %bb.5:                                ;   in Loop: Header=BB0_2 Depth=1
	v_cvt_f32_u32_e32 v2, s18
	s_sub_i32 s3, 0, s18
	s_delay_alu instid0(VALU_DEP_1) | instskip(SKIP_2) | instid1(VALU_DEP_1)
	v_rcp_iflag_f32_e32 v2, v2
	s_waitcnt_depctr 0xfff
	v_mul_f32_e32 v2, 0x4f7ffffe, v2
	v_cvt_u32_f32_e32 v2, v2
	s_delay_alu instid0(VALU_DEP_1) | instskip(NEXT) | instid1(VALU_DEP_1)
	v_mul_lo_u32 v7, s3, v2
	v_mul_hi_u32 v7, v2, v7
	s_delay_alu instid0(VALU_DEP_1) | instskip(NEXT) | instid1(VALU_DEP_1)
	v_add_nc_u32_e32 v2, v2, v7
	v_mul_hi_u32 v2, v5, v2
	s_delay_alu instid0(VALU_DEP_1) | instskip(SKIP_1) | instid1(VALU_DEP_2)
	v_mul_lo_u32 v7, v2, s18
	v_add_nc_u32_e32 v8, 1, v2
	v_sub_nc_u32_e32 v7, v5, v7
	s_delay_alu instid0(VALU_DEP_1) | instskip(SKIP_1) | instid1(VALU_DEP_2)
	v_subrev_nc_u32_e32 v9, s18, v7
	v_cmp_le_u32_e32 vcc_lo, s18, v7
	v_dual_cndmask_b32 v7, v7, v9 :: v_dual_cndmask_b32 v2, v2, v8
	s_delay_alu instid0(VALU_DEP_1) | instskip(NEXT) | instid1(VALU_DEP_2)
	v_cmp_le_u32_e32 vcc_lo, s18, v7
	v_add_nc_u32_e32 v8, 1, v2
	s_delay_alu instid0(VALU_DEP_1)
	v_dual_cndmask_b32 v7, v2, v8 :: v_dual_mov_b32 v8, v1
.LBB0_6:                                ;   in Loop: Header=BB0_2 Depth=1
	s_or_b32 exec_lo, exec_lo, s2
	s_load_b64 s[2:3], s[12:13], 0x0
	s_delay_alu instid0(VALU_DEP_1) | instskip(NEXT) | instid1(VALU_DEP_2)
	v_mul_lo_u32 v2, v8, s18
	v_mul_lo_u32 v11, v7, s19
	v_mad_u64_u32 v[9:10], null, v7, s18, 0
	s_add_u32 s16, s16, 1
	s_addc_u32 s17, s17, 0
	s_add_u32 s12, s12, 8
	s_addc_u32 s13, s13, 0
	;; [unrolled: 2-line block ×3, first 2 shown]
	s_delay_alu instid0(VALU_DEP_1) | instskip(SKIP_1) | instid1(VALU_DEP_2)
	v_add3_u32 v2, v10, v11, v2
	v_sub_co_u32 v9, vcc_lo, v5, v9
	v_sub_co_ci_u32_e32 v2, vcc_lo, v6, v2, vcc_lo
	s_waitcnt lgkmcnt(0)
	s_delay_alu instid0(VALU_DEP_2) | instskip(NEXT) | instid1(VALU_DEP_2)
	v_mul_lo_u32 v10, s3, v9
	v_mul_lo_u32 v2, s2, v2
	v_mad_u64_u32 v[5:6], null, s2, v9, v[3:4]
	v_cmp_ge_u64_e64 s2, s[16:17], s[6:7]
	s_delay_alu instid0(VALU_DEP_1) | instskip(NEXT) | instid1(VALU_DEP_2)
	s_and_b32 vcc_lo, exec_lo, s2
	v_add3_u32 v4, v10, v6, v2
	s_delay_alu instid0(VALU_DEP_3)
	v_mov_b32_e32 v3, v5
	s_cbranch_vccnz .LBB0_9
; %bb.7:                                ;   in Loop: Header=BB0_2 Depth=1
	v_dual_mov_b32 v5, v7 :: v_dual_mov_b32 v6, v8
	s_branch .LBB0_2
.LBB0_8:
	v_dual_mov_b32 v8, v6 :: v_dual_mov_b32 v7, v5
.LBB0_9:
	s_lshl_b64 s[2:3], s[6:7], 3
	v_mul_hi_u32 v1, 0x4924925, v0
	s_add_u32 s2, s10, s2
	s_addc_u32 s3, s11, s3
	s_load_b64 s[0:1], s[0:1], 0x20
	s_load_b64 s[2:3], s[2:3], 0x0
                                        ; implicit-def: $vgpr106
	s_delay_alu instid0(VALU_DEP_1) | instskip(NEXT) | instid1(VALU_DEP_1)
	v_mul_u32_u24_e32 v1, 56, v1
	v_sub_nc_u32_e32 v92, v0, v1
	s_delay_alu instid0(VALU_DEP_1)
	v_add_nc_u32_e32 v101, 56, v92
	v_add_nc_u32_e32 v111, 0x70, v92
	;; [unrolled: 1-line block ×5, first 2 shown]
	s_waitcnt lgkmcnt(0)
	v_cmp_gt_u64_e32 vcc_lo, s[0:1], v[7:8]
	v_mul_lo_u32 v2, s2, v8
	v_mul_lo_u32 v5, s3, v7
	v_mad_u64_u32 v[0:1], null, s2, v7, v[3:4]
	v_cmp_le_u64_e64 s0, s[0:1], v[7:8]
	v_add_nc_u32_e32 v107, 0x150, v92
	v_add_nc_u32_e32 v104, 0x188, v92
	v_or_b32_e32 v94, 0x1c0, v92
	v_add_nc_u32_e32 v103, 0x1f8, v92
	v_add_nc_u32_e32 v100, 0x230, v92
	v_add3_u32 v1, v5, v1, v2
	s_and_saveexec_b32 s1, s0
	s_delay_alu instid0(SALU_CYCLE_1)
	s_xor_b32 s0, exec_lo, s1
; %bb.10:
	v_add_nc_u32_e32 v101, 56, v92
	v_add_nc_u32_e32 v111, 0x70, v92
	;; [unrolled: 1-line block ×7, first 2 shown]
	v_or_b32_e32 v106, 0x1c0, v92
	v_add_nc_u32_e32 v103, 0x1f8, v92
	v_add_nc_u32_e32 v100, 0x230, v92
; %bb.11:
	s_or_saveexec_b32 s1, s0
	v_lshlrev_b64 v[98:99], 4, v[0:1]
	v_or_b32_e32 v96, 0x380, v92
	s_xor_b32 exec_lo, exec_lo, s1
	s_cbranch_execz .LBB0_13
; %bb.12:
	v_dual_mov_b32 v93, 0 :: v_dual_mov_b32 v106, v94
	s_delay_alu instid0(VALU_DEP_3) | instskip(NEXT) | instid1(VALU_DEP_1)
	v_add_co_u32 v22, s0, s8, v98
	v_add_co_ci_u32_e64 v23, s0, s9, v99, s0
	s_delay_alu instid0(VALU_DEP_3) | instskip(SKIP_3) | instid1(VALU_DEP_3)
	v_lshlrev_b64 v[0:1], 4, v[92:93]
	v_mov_b32_e32 v95, v93
	v_mov_b32_e32 v97, v93
	v_lshl_add_u32 v84, v92, 4, 0
	v_lshlrev_b64 v[18:19], 4, v[94:95]
	v_add_co_u32 v16, s0, v22, v0
	s_delay_alu instid0(VALU_DEP_1) | instskip(SKIP_1) | instid1(VALU_DEP_3)
	v_add_co_ci_u32_e64 v17, s0, v23, v1, s0
	v_lshlrev_b64 v[20:21], 4, v[96:97]
	v_add_co_u32 v36, s0, 0x1000, v16
	s_delay_alu instid0(VALU_DEP_1) | instskip(SKIP_1) | instid1(VALU_DEP_1)
	v_add_co_ci_u32_e64 v37, s0, 0, v17, s0
	v_add_co_u32 v32, s0, v22, v18
	v_add_co_ci_u32_e64 v33, s0, v23, v19, s0
	v_add_co_u32 v52, s0, 0x2000, v16
	s_delay_alu instid0(VALU_DEP_1) | instskip(SKIP_1) | instid1(VALU_DEP_1)
	v_add_co_ci_u32_e64 v53, s0, 0, v17, s0
	v_add_co_u32 v72, s0, 0x3000, v16
	v_add_co_ci_u32_e64 v73, s0, 0, v17, s0
	;; [unrolled: 5-line block ×3, first 2 shown]
	s_clause 0x14
	global_load_b128 v[0:3], v[16:17], off
	global_load_b128 v[4:7], v[16:17], off offset:896
	global_load_b128 v[8:11], v[16:17], off offset:1792
	global_load_b128 v[12:15], v[16:17], off offset:2688
	global_load_b128 v[16:19], v[16:17], off offset:3584
	global_load_b128 v[20:23], v[36:37], off offset:384
	global_load_b128 v[24:27], v[36:37], off offset:1280
	global_load_b128 v[28:31], v[36:37], off offset:2176
	global_load_b128 v[32:35], v[32:33], off
	global_load_b128 v[36:39], v[36:37], off offset:3968
	global_load_b128 v[40:43], v[52:53], off offset:768
	;; [unrolled: 1-line block ×7, first 2 shown]
	global_load_b128 v[64:67], v[64:65], off
	global_load_b128 v[68:71], v[72:73], off offset:2944
	global_load_b128 v[72:75], v[72:73], off offset:3840
	;; [unrolled: 1-line block ×4, first 2 shown]
	s_waitcnt vmcnt(20)
	ds_store_b128 v84, v[0:3]
	s_waitcnt vmcnt(19)
	ds_store_b128 v84, v[4:7] offset:896
	s_waitcnt vmcnt(18)
	ds_store_b128 v84, v[8:11] offset:1792
	;; [unrolled: 2-line block ×20, first 2 shown]
.LBB0_13:
	s_or_b32 exec_lo, exec_lo, s1
	v_lshlrev_b32_e32 v93, 4, v92
	s_waitcnt lgkmcnt(0)
	s_barrier
	buffer_gl0_inv
	v_lshl_add_u32 v88, v108, 5, 0
	v_add_nc_u32_e32 v113, 0, v93
	v_lshl_add_u32 v89, v107, 5, 0
	v_lshl_add_u32 v90, v104, 5, 0
	;; [unrolled: 1-line block ×4, first 2 shown]
	ds_load_b128 v[0:3], v113 offset:9408
	ds_load_b128 v[4:7], v113
	ds_load_b128 v[8:11], v113 offset:896
	ds_load_b128 v[12:15], v113 offset:10304
	ds_load_b128 v[16:19], v113 offset:11200
	ds_load_b128 v[20:23], v113 offset:1792
	ds_load_b128 v[24:27], v113 offset:2688
	ds_load_b128 v[28:31], v113 offset:12096
	ds_load_b128 v[32:35], v113 offset:12992
	ds_load_b128 v[36:39], v113 offset:3584
	ds_load_b128 v[40:43], v113 offset:4480
	ds_load_b128 v[44:47], v113 offset:13888
	ds_load_b128 v[48:51], v113 offset:14784
	ds_load_b128 v[52:55], v113 offset:5376
	ds_load_b128 v[56:59], v113 offset:6272
	ds_load_b128 v[60:63], v113 offset:15680
	ds_load_b128 v[64:67], v113 offset:16576
	ds_load_b128 v[68:71], v113 offset:8960
	ds_load_b128 v[72:75], v113 offset:7168
	ds_load_b128 v[76:79], v113 offset:8064
	ds_load_b128 v[80:83], v113 offset:17472
	ds_load_b128 v[84:87], v113 offset:18368
	s_waitcnt lgkmcnt(20)
	v_add_f64 v[117:118], v[4:5], -v[0:1]
	v_add_f64 v[119:120], v[6:7], -v[2:3]
	s_waitcnt lgkmcnt(18)
	v_add_f64 v[12:13], v[8:9], -v[12:13]
	v_add_f64 v[14:15], v[10:11], -v[14:15]
	;; [unrolled: 3-line block ×9, first 2 shown]
	s_waitcnt lgkmcnt(1)
	v_add_f64 v[80:81], v[76:77], -v[80:81]
	s_waitcnt lgkmcnt(0)
	v_add_f64 v[0:1], v[68:69], -v[84:85]
	v_add_f64 v[2:3], v[70:71], -v[86:87]
	;; [unrolled: 1-line block ×3, first 2 shown]
	v_add_nc_u32_e32 v95, v113, v93
	v_cmp_gt_u32_e64 s0, 28, v92
	s_barrier
	buffer_gl0_inv
	v_fma_f64 v[84:85], v[4:5], 2.0, -v[117:118]
	v_fma_f64 v[86:87], v[6:7], 2.0, -v[119:120]
	;; [unrolled: 1-line block ×22, first 2 shown]
	v_lshl_add_u32 v68, v101, 5, 0
	v_lshl_add_u32 v69, v111, 5, 0
	;; [unrolled: 1-line block ×4, first 2 shown]
	ds_store_b128 v95, v[84:87]
	ds_store_b128 v95, v[117:120] offset:16
	ds_store_b128 v68, v[8:11]
	ds_store_b128 v68, v[12:15] offset:16
	;; [unrolled: 2-line block ×10, first 2 shown]
	s_and_saveexec_b32 s1, s0
	s_cbranch_execz .LBB0_15
; %bb.14:
	v_lshl_add_u32 v8, v100, 5, 0
	ds_store_b128 v8, v[4:7]
	ds_store_b128 v8, v[0:3] offset:16
.LBB0_15:
	s_or_b32 exec_lo, exec_lo, s1
	v_lshlrev_b32_e32 v118, 4, v107
	v_lshlrev_b32_e32 v117, 4, v108
	;; [unrolled: 1-line block ×5, first 2 shown]
	v_lshl_add_u32 v97, v109, 4, 0
	v_sub_nc_u32_e32 v28, v89, v118
	v_sub_nc_u32_e32 v20, v88, v117
	;; [unrolled: 1-line block ×3, first 2 shown]
	v_lshl_add_u32 v114, v111, 4, 0
	v_lshl_add_u32 v105, v110, 4, 0
	v_sub_nc_u32_e32 v32, v91, v120
	v_sub_nc_u32_e32 v33, v116, v128
	s_waitcnt lgkmcnt(0)
	s_barrier
	buffer_gl0_inv
	ds_load_b128 v[8:11], v113
	ds_load_b128 v[48:51], v113 offset:9408
	v_lshl_add_u32 v115, v101, 4, 0
	ds_load_b128 v[56:59], v113 offset:10304
	ds_load_b128 v[52:55], v113 offset:11200
	ds_load_b128 v[16:19], v114
	ds_load_b128 v[12:15], v105
	ds_load_b128 v[64:67], v113 offset:12096
	ds_load_b128 v[60:63], v113 offset:12992
	ds_load_b128 v[24:27], v97
	ds_load_b128 v[20:23], v20
	ds_load_b128 v[72:75], v113 offset:13888
	ds_load_b128 v[68:71], v113 offset:14784
	ds_load_b128 v[36:39], v28
	ds_load_b128 v[28:31], v29
	ds_load_b128 v[80:83], v113 offset:15680
	ds_load_b128 v[76:79], v113 offset:16576
	ds_load_b128 v[40:43], v32
	ds_load_b128 v[32:35], v33
	ds_load_b128 v[44:47], v115
	ds_load_b128 v[84:87], v113 offset:17472
	v_lshlrev_b32_e32 v127, 1, v101
	v_lshlrev_b32_e32 v126, 1, v111
	;; [unrolled: 1-line block ×9, first 2 shown]
	v_lshl_add_u32 v95, v100, 4, 0
	s_and_saveexec_b32 s1, s0
	s_cbranch_execz .LBB0_17
; %bb.16:
	ds_load_b128 v[4:7], v95
	ds_load_b128 v[0:3], v113 offset:18368
.LBB0_17:
	s_or_b32 exec_lo, exec_lo, s1
	v_and_b32_e32 v130, 1, v92
	s_delay_alu instid0(VALU_DEP_1)
	v_lshlrev_b32_e32 v129, 4, v130
	global_load_b128 v[131:134], v129, s[4:5]
	v_lshlrev_b32_e32 v129, 1, v92
	s_waitcnt vmcnt(0) lgkmcnt(0)
	s_barrier
	buffer_gl0_inv
	v_mul_f64 v[135:136], v[50:51], v[133:134]
	v_mul_f64 v[137:138], v[48:49], v[133:134]
	;; [unrolled: 1-line block ×22, first 2 shown]
	v_fma_f64 v[48:49], v[48:49], v[131:132], -v[135:136]
	v_fma_f64 v[50:51], v[50:51], v[131:132], v[137:138]
	v_fma_f64 v[56:57], v[56:57], v[131:132], -v[139:140]
	v_fma_f64 v[58:59], v[58:59], v[131:132], v[141:142]
	;; [unrolled: 2-line block ×11, first 2 shown]
	v_and_or_b32 v87, 0x1fc, v126, v130
	s_delay_alu instid0(VALU_DEP_1)
	v_lshl_add_u32 v87, v87, 4, 0
	v_add_f64 v[52:53], v[8:9], -v[48:49]
	v_add_f64 v[54:55], v[10:11], -v[50:51]
	;; [unrolled: 1-line block ×22, first 2 shown]
	v_and_or_b32 v85, 0x7c, v129, v130
	v_and_or_b32 v86, 0xfc, v127, v130
	v_sub_nc_u32_e32 v64, 0, v117
	v_sub_nc_u32_e32 v51, 0, v118
	;; [unrolled: 1-line block ×5, first 2 shown]
	v_lshlrev_b32_e32 v128, 1, v100
	v_and_or_b32 v117, 0x1fc, v125, v130
	v_and_or_b32 v118, 0x3fc, v124, v130
	;; [unrolled: 1-line block ×7, first 2 shown]
	v_lshl_add_u32 v85, v85, 4, 0
	v_fma_f64 v[8:9], v[8:9], 2.0, -v[52:53]
	v_fma_f64 v[10:11], v[10:11], 2.0, -v[54:55]
	;; [unrolled: 1-line block ×22, first 2 shown]
	v_lshl_add_u32 v86, v86, 4, 0
	v_lshl_add_u32 v117, v117, 4, 0
	;; [unrolled: 1-line block ×8, first 2 shown]
	ds_store_b128 v85, v[8:11]
	ds_store_b128 v85, v[52:55] offset:32
	ds_store_b128 v86, v[44:47]
	ds_store_b128 v86, v[56:59] offset:32
	;; [unrolled: 2-line block ×10, first 2 shown]
	s_and_saveexec_b32 s1, s0
	s_cbranch_execz .LBB0_19
; %bb.18:
	v_and_or_b32 v8, 0x4fc, v128, v130
	s_delay_alu instid0(VALU_DEP_1)
	v_lshl_add_u32 v8, v8, 4, 0
	ds_store_b128 v8, v[4:7]
	ds_store_b128 v8, v[0:3] offset:32
.LBB0_19:
	s_or_b32 exec_lo, exec_lo, s1
	v_add_nc_u32_e32 v119, v89, v51
	v_add_nc_u32_e32 v118, v90, v50
	;; [unrolled: 1-line block ×3, first 2 shown]
	s_waitcnt lgkmcnt(0)
	s_barrier
	buffer_gl0_inv
	ds_load_b128 v[8:11], v113
	ds_load_b128 v[52:55], v113 offset:9408
	ds_load_b128 v[56:59], v113 offset:10304
	;; [unrolled: 1-line block ×3, first 2 shown]
	v_add_nc_u32_e32 v120, v88, v64
	ds_load_b128 v[20:23], v114
	ds_load_b128 v[12:15], v105
	ds_load_b128 v[68:71], v113 offset:12096
	ds_load_b128 v[64:67], v113 offset:12992
	ds_load_b128 v[24:27], v97
	ds_load_b128 v[16:19], v120
	ds_load_b128 v[76:79], v113 offset:13888
	ds_load_b128 v[72:75], v113 offset:14784
	v_add_nc_u32_e32 v116, v116, v48
	ds_load_b128 v[36:39], v119
	ds_load_b128 v[28:31], v118
	ds_load_b128 v[84:87], v113 offset:15680
	ds_load_b128 v[80:83], v113 offset:16576
	ds_load_b128 v[40:43], v117
	ds_load_b128 v[32:35], v116
	;; [unrolled: 1-line block ×3, first 2 shown]
	ds_load_b128 v[88:91], v113 offset:17472
	s_and_saveexec_b32 s1, s0
	s_cbranch_execz .LBB0_21
; %bb.20:
	ds_load_b128 v[4:7], v95
	ds_load_b128 v[0:3], v113 offset:18368
.LBB0_21:
	s_or_b32 exec_lo, exec_lo, s1
	v_and_b32_e32 v130, 3, v92
	s_delay_alu instid0(VALU_DEP_1)
	v_lshlrev_b32_e32 v48, 4, v130
	v_and_or_b32 v129, 0x78, v129, v130
	v_and_or_b32 v127, 0xf8, v127, v130
	;; [unrolled: 1-line block ×4, first 2 shown]
	global_load_b128 v[48:51], v48, s[4:5] offset:32
	v_and_or_b32 v124, 0x3f8, v124, v130
	v_and_or_b32 v123, 0x2f8, v123, v130
	v_and_or_b32 v122, 0x3f8, v122, v130
	v_and_or_b32 v121, 0x3f8, v121, v130
	v_and_or_b32 v112, 0x3f8, v112, v130
	v_and_or_b32 v102, 0x7f8, v102, v130
	v_lshl_add_u32 v129, v129, 4, 0
	v_lshl_add_u32 v127, v127, 4, 0
	;; [unrolled: 1-line block ×3, first 2 shown]
	s_waitcnt vmcnt(0) lgkmcnt(0)
	s_barrier
	buffer_gl0_inv
	v_lshl_add_u32 v125, v125, 4, 0
	v_lshl_add_u32 v124, v124, 4, 0
	;; [unrolled: 1-line block ×7, first 2 shown]
	v_mul_f64 v[131:132], v[54:55], v[50:51]
	v_mul_f64 v[133:134], v[52:53], v[50:51]
	;; [unrolled: 1-line block ×20, first 2 shown]
	v_fma_f64 v[52:53], v[52:53], v[48:49], -v[131:132]
	v_fma_f64 v[54:55], v[54:55], v[48:49], v[133:134]
	v_fma_f64 v[56:57], v[56:57], v[48:49], -v[135:136]
	v_fma_f64 v[58:59], v[58:59], v[48:49], v[137:138]
	;; [unrolled: 2-line block ×10, first 2 shown]
	v_add_f64 v[52:53], v[8:9], -v[52:53]
	v_add_f64 v[54:55], v[10:11], -v[54:55]
	;; [unrolled: 1-line block ×20, first 2 shown]
	v_fma_f64 v[8:9], v[8:9], 2.0, -v[52:53]
	v_fma_f64 v[10:11], v[10:11], 2.0, -v[54:55]
	;; [unrolled: 1-line block ×20, first 2 shown]
	ds_store_b128 v129, v[52:55] offset:64
	ds_store_b128 v129, v[8:11]
	ds_store_b128 v127, v[44:47]
	ds_store_b128 v127, v[56:59] offset:64
	ds_store_b128 v126, v[20:23]
	ds_store_b128 v126, v[60:63] offset:64
	ds_store_b128 v125, v[12:15]
	ds_store_b128 v125, v[64:67] offset:64
	ds_store_b128 v124, v[24:27]
	ds_store_b128 v124, v[68:71] offset:64
	ds_store_b128 v123, v[16:19]
	ds_store_b128 v123, v[72:75] offset:64
	ds_store_b128 v122, v[36:39]
	ds_store_b128 v122, v[76:79] offset:64
	ds_store_b128 v121, v[28:31]
	ds_store_b128 v121, v[80:83] offset:64
	ds_store_b128 v112, v[40:43]
	ds_store_b128 v112, v[84:87] offset:64
	ds_store_b128 v102, v[32:35]
	ds_store_b128 v102, v[88:91] offset:64
	s_and_saveexec_b32 s1, s0
	s_cbranch_execz .LBB0_23
; %bb.22:
	v_mul_f64 v[8:9], v[0:1], v[50:51]
	v_mul_f64 v[10:11], v[2:3], v[50:51]
	s_delay_alu instid0(VALU_DEP_2) | instskip(NEXT) | instid1(VALU_DEP_2)
	v_fma_f64 v[2:3], v[2:3], v[48:49], v[8:9]
	v_fma_f64 v[0:1], v[0:1], v[48:49], -v[10:11]
	v_and_or_b32 v8, 0x4f8, v128, v130
	s_delay_alu instid0(VALU_DEP_1) | instskip(NEXT) | instid1(VALU_DEP_4)
	v_lshl_add_u32 v8, v8, 4, 0
	v_add_f64 v[2:3], v[6:7], -v[2:3]
	s_delay_alu instid0(VALU_DEP_4) | instskip(NEXT) | instid1(VALU_DEP_2)
	v_add_f64 v[0:1], v[4:5], -v[0:1]
	v_fma_f64 v[6:7], v[6:7], 2.0, -v[2:3]
	s_delay_alu instid0(VALU_DEP_2)
	v_fma_f64 v[4:5], v[4:5], 2.0, -v[0:1]
	ds_store_b128 v8, v[4:7]
	ds_store_b128 v8, v[0:3] offset:64
.LBB0_23:
	s_or_b32 exec_lo, exec_lo, s1
	v_and_b32_e32 v102, 7, v92
	s_waitcnt lgkmcnt(0)
	s_barrier
	buffer_gl0_inv
	v_lshrrev_b32_e32 v173, 3, v101
	v_lshlrev_b32_e32 v0, 5, v102
	v_lshrrev_b32_e32 v174, 3, v111
	v_and_b32_e32 v179, 0xff, v92
	v_and_b32_e32 v180, 0xff, v101
	v_lshrrev_b32_e32 v175, 3, v110
	s_clause 0x1
	global_load_b128 v[32:35], v0, s[4:5] offset:96
	global_load_b128 v[28:31], v0, s[4:5] offset:112
	ds_load_b128 v[76:79], v118
	ds_load_b128 v[80:83], v113 offset:12544
	ds_load_b128 v[24:27], v113
	ds_load_b128 v[68:71], v113 offset:7168
	ds_load_b128 v[20:23], v115
	ds_load_b128 v[12:15], v114
	ds_load_b128 v[88:91], v113 offset:13440
	ds_load_b128 v[56:59], v113 offset:14336
	ds_load_b128 v[84:87], v113 offset:8064
	ds_load_b128 v[52:55], v113 offset:8960
	ds_load_b128 v[16:19], v105
	ds_load_b128 v[4:7], v97
	ds_load_b128 v[72:75], v113 offset:15232
	ds_load_b128 v[48:51], v113 offset:16128
	ds_load_b128 v[60:63], v113 offset:9856
	;; [unrolled: 6-line block ×3, first 2 shown]
	v_lshrrev_b32_e32 v176, 3, v109
	v_lshrrev_b32_e32 v177, 3, v108
	;; [unrolled: 1-line block ×3, first 2 shown]
	v_mul_lo_u32 v181, v175, 24
	s_mov_b32 s2, 0xe8584caa
	v_mul_lo_u32 v182, v176, 24
	v_mul_lo_u32 v183, v177, 24
	v_mul_lo_u32 v184, v178, 24
	s_mov_b32 s3, 0x3febb67a
	s_mov_b32 s7, 0xbfebb67a
	;; [unrolled: 1-line block ×3, first 2 shown]
	v_lshrrev_b32_e32 v112, 3, v92
	s_waitcnt vmcnt(0) lgkmcnt(0)
	s_barrier
	buffer_gl0_inv
	s_mov_b32 s12, 0x37e14327
	v_mul_u32_u24_e32 v112, 24, v112
	s_mov_b32 s18, 0xe976ee23
	s_mov_b32 s13, 0x3fe948f6
	;; [unrolled: 1-line block ×4, first 2 shown]
	v_or_b32_e32 v112, v112, v102
	s_mov_b32 s14, 0x5476071b
	s_mov_b32 s20, 0xb247c609
	;; [unrolled: 1-line block ×11, first 2 shown]
	v_mul_f64 v[121:122], v[78:79], v[34:35]
	v_mul_f64 v[123:124], v[82:83], v[30:31]
	;; [unrolled: 1-line block ×28, first 2 shown]
	v_fma_f64 v[76:77], v[76:77], v[32:33], -v[121:122]
	v_fma_f64 v[80:81], v[80:81], v[28:29], -v[123:124]
	v_fma_f64 v[78:79], v[78:79], v[32:33], v[125:126]
	v_fma_f64 v[82:83], v[82:83], v[28:29], v[127:128]
	v_fma_f64 v[68:69], v[68:69], v[32:33], -v[129:130]
	v_fma_f64 v[88:89], v[88:89], v[28:29], -v[131:132]
	v_fma_f64 v[70:71], v[70:71], v[32:33], v[133:134]
	v_fma_f64 v[90:91], v[90:91], v[28:29], v[135:136]
	;; [unrolled: 4-line block ×7, first 2 shown]
	v_mul_lo_u32 v123, v173, 24
	v_mul_lo_u32 v125, v174, 24
	v_mul_lo_u16 v28, 0xab, v179
	v_mul_lo_u16 v121, 0xab, v180
	s_delay_alu instid0(VALU_DEP_2) | instskip(NEXT) | instid1(VALU_DEP_2)
	v_lshrrev_b16 v29, 12, v28
	v_lshrrev_b16 v28, 12, v121
	v_or_b32_e32 v185, v123, v102
	v_or_b32_e32 v186, v125, v102
	v_add_f64 v[30:31], v[76:77], v[80:81]
	v_add_f64 v[129:130], v[24:25], v[76:77]
	;; [unrolled: 1-line block ×5, first 2 shown]
	v_add_f64 v[133:134], v[78:79], -v[82:83]
	v_add_f64 v[121:122], v[70:71], v[90:91]
	v_add_f64 v[78:79], v[26:27], v[78:79]
	;; [unrolled: 1-line block ×3, first 2 shown]
	v_add_f64 v[76:77], v[76:77], -v[80:81]
	v_add_f64 v[125:126], v[86:87], v[58:59]
	v_add_f64 v[145:146], v[70:71], -v[90:91]
	v_add_f64 v[127:128], v[52:53], v[72:73]
	v_add_f64 v[70:71], v[22:23], v[70:71]
	v_add_f64 v[131:132], v[54:55], v[74:75]
	v_add_f64 v[68:69], v[68:69], -v[88:89]
	v_add_f64 v[135:136], v[60:61], v[48:49]
	v_add_f64 v[157:158], v[18:19], v[54:55]
	;; [unrolled: 4-line block ×3, first 2 shown]
	v_add_f64 v[143:144], v[42:43], v[66:67]
	v_add_f64 v[167:168], v[0:1], v[36:37]
	v_add_f64 v[147:148], v[36:37], v[44:45]
	v_add_f64 v[169:170], v[2:3], v[32:33]
	v_add_f64 v[149:150], v[32:33], v[34:35]
	v_add_f64 v[151:152], v[12:13], v[84:85]
	v_add_f64 v[153:154], v[14:15], v[86:87]
	v_add_f64 v[155:156], v[16:17], v[52:53]
	v_add_f64 v[161:162], v[6:7], v[62:63]
	v_add_f64 v[86:87], v[86:87], -v[58:59]
	v_add_f64 v[84:85], v[84:85], -v[56:57]
	v_add_f64 v[163:164], v[8:9], v[40:41]
	v_add_f64 v[165:166], v[10:11], v[42:43]
	v_add_f64 v[175:176], v[40:41], -v[64:65]
	v_add_f64 v[177:178], v[32:33], -v[34:35]
	;; [unrolled: 1-line block ×3, first 2 shown]
	v_fma_f64 v[171:172], v[30:31], -0.5, v[24:25]
	v_mul_lo_u16 v187, v29, 24
	v_fma_f64 v[25:26], v[38:39], -0.5, v[26:27]
	v_or_b32_e32 v27, v183, v102
	v_fma_f64 v[46:47], v[46:47], -0.5, v[20:21]
	v_fma_f64 v[54:55], v[121:122], -0.5, v[22:23]
	v_add_f64 v[121:122], v[52:53], -v[72:73]
	v_fma_f64 v[52:53], v[123:124], -0.5, v[12:13]
	v_add_f64 v[123:124], v[62:63], -v[50:51]
	;; [unrolled: 2-line block ×4, first 2 shown]
	v_fma_f64 v[131:132], v[131:132], -0.5, v[18:19]
	v_lshl_add_u32 v27, v27, 4, 0
	v_fma_f64 v[135:136], v[135:136], -0.5, v[4:5]
	v_add_f64 v[4:5], v[129:130], v[80:81]
	v_fma_f64 v[137:138], v[137:138], -0.5, v[6:7]
	v_add_f64 v[6:7], v[78:79], v[82:83]
	;; [unrolled: 2-line block ×6, first 2 shown]
	v_add_f64 v[2:3], v[70:71], v[90:91]
	v_add_f64 v[9:10], v[151:152], v[56:57]
	;; [unrolled: 1-line block ×8, first 2 shown]
	v_sub_nc_u16 v8, v92, v187
	v_or_b32_e32 v90, v184, v102
	v_fma_f64 v[34:35], v[133:134], s[2:3], v[171:172]
	v_fma_f64 v[38:39], v[133:134], s[6:7], v[171:172]
	;; [unrolled: 1-line block ×28, first 2 shown]
	v_and_b32_e32 v8, 0xff, v8
	v_or_b32_e32 v25, v181, v102
	v_or_b32_e32 v26, v182, v102
	v_lshl_add_u32 v91, v112, 4, 0
	v_mul_lo_u16 v102, v28, 24
	v_mul_u32_u24_e32 v122, 6, v8
	v_lshl_add_u32 v112, v185, 4, 0
	v_lshl_add_u32 v121, v186, 4, 0
	;; [unrolled: 1-line block ×4, first 2 shown]
	v_lshlrev_b32_e32 v122, 4, v122
	v_lshl_add_u32 v90, v90, 4, 0
	v_sub_nc_u16 v102, v101, v102
	ds_store_b128 v91, v[4:7]
	ds_store_b128 v91, v[34:37] offset:128
	ds_store_b128 v91, v[38:41] offset:256
	ds_store_b128 v112, v[0:3]
	ds_store_b128 v112, v[42:45] offset:128
	ds_store_b128 v112, v[46:49] offset:256
	;; [unrolled: 3-line block ×7, first 2 shown]
	s_waitcnt lgkmcnt(0)
	s_barrier
	buffer_gl0_inv
	global_load_b128 v[0:3], v122, s[4:5] offset:352
	v_and_b32_e32 v9, 0xff, v102
	s_clause 0x2
	global_load_b128 v[4:7], v122, s[4:5] offset:368
	global_load_b128 v[12:15], v122, s[4:5] offset:416
	;; [unrolled: 1-line block ×3, first 2 shown]
	v_and_b32_e32 v11, 0xff, v111
	v_mul_u32_u24_e32 v10, 6, v9
	s_mov_b32 s2, 0x36b3c0b5
	s_mov_b32 s3, 0x3fac98ee
	;; [unrolled: 1-line block ×4, first 2 shown]
	v_lshlrev_b32_e32 v66, 4, v10
	v_mul_lo_u16 v10, 0xab, v11
	v_and_b32_e32 v102, 0xffff, v29
	v_and_b32_e32 v112, 0xffff, v28
	v_lshlrev_b32_e32 v8, 4, v8
	s_clause 0x1
	global_load_b128 v[20:23], v66, s[4:5] offset:352
	global_load_b128 v[24:27], v66, s[4:5] offset:368
	v_lshrrev_b16 v11, 12, v10
	s_clause 0x2
	global_load_b128 v[30:33], v66, s[4:5] offset:416
	global_load_b128 v[34:37], v122, s[4:5] offset:384
	;; [unrolled: 1-line block ×3, first 2 shown]
	v_lshlrev_b32_e32 v9, 4, v9
	v_mul_lo_u16 v10, v11, 24
	v_and_b32_e32 v11, 0xffff, v11
	s_delay_alu instid0(VALU_DEP_2) | instskip(NEXT) | instid1(VALU_DEP_2)
	v_sub_nc_u16 v10, v111, v10
	v_mul_u32_u24_e32 v11, 0xa80, v11
	s_delay_alu instid0(VALU_DEP_2) | instskip(NEXT) | instid1(VALU_DEP_1)
	v_and_b32_e32 v10, 0xff, v10
	v_mul_u32_u24_e32 v42, 6, v10
	v_lshlrev_b32_e32 v10, 4, v10
	s_delay_alu instid0(VALU_DEP_2)
	v_lshlrev_b32_e32 v74, 4, v42
	s_clause 0x8
	global_load_b128 v[42:45], v122, s[4:5] offset:400
	global_load_b128 v[46:49], v74, s[4:5] offset:352
	;; [unrolled: 1-line block ×9, first 2 shown]
	ds_load_b128 v[78:81], v105
	ds_load_b128 v[82:85], v119
	ds_load_b128 v[86:89], v113 offset:13440
	ds_load_b128 v[121:124], v113 offset:16128
	;; [unrolled: 1-line block ×6, first 2 shown]
	ds_load_b128 v[141:144], v113
	ds_load_b128 v[145:148], v116
	ds_load_b128 v[149:152], v113 offset:4480
	ds_load_b128 v[153:156], v113 offset:17024
	;; [unrolled: 1-line block ×4, first 2 shown]
	v_add3_u32 v10, 0, v11, v10
	s_waitcnt vmcnt(17) lgkmcnt(13)
	v_mul_f64 v[90:91], v[80:81], v[2:3]
	v_mul_f64 v[2:3], v[78:79], v[2:3]
	s_waitcnt vmcnt(16) lgkmcnt(12)
	v_mul_f64 v[165:166], v[84:85], v[6:7]
	s_waitcnt vmcnt(15) lgkmcnt(11)
	;; [unrolled: 2-line block ×3, first 2 shown]
	v_mul_f64 v[169:170], v[123:124], v[18:19]
	v_mul_f64 v[6:7], v[82:83], v[6:7]
	;; [unrolled: 1-line block ×4, first 2 shown]
	s_waitcnt vmcnt(13) lgkmcnt(9)
	v_mul_f64 v[171:172], v[127:128], v[22:23]
	v_mul_f64 v[22:23], v[125:126], v[22:23]
	s_waitcnt vmcnt(12) lgkmcnt(8)
	v_mul_f64 v[173:174], v[131:132], v[26:27]
	v_mul_f64 v[26:27], v[129:130], v[26:27]
	;; [unrolled: 3-line block ×4, first 2 shown]
	v_fma_f64 v[90:91], v[78:79], v[0:1], -v[90:91]
	v_fma_f64 v[177:178], v[80:81], v[0:1], v[2:3]
	ds_load_b128 v[0:3], v113 offset:8960
	ds_load_b128 v[78:81], v113 offset:17920
	v_fma_f64 v[82:83], v[82:83], v[4:5], -v[165:166]
	v_mul_f64 v[165:166], v[147:148], v[36:37]
	v_fma_f64 v[86:87], v[86:87], v[12:13], -v[167:168]
	v_mul_f64 v[36:37], v[145:146], v[36:37]
	s_waitcnt vmcnt(8) lgkmcnt(3)
	v_mul_f64 v[167:168], v[159:160], v[44:45]
	v_mul_f64 v[44:45], v[157:158], v[44:45]
	s_waitcnt vmcnt(7)
	v_mul_f64 v[181:182], v[151:152], v[48:49]
	v_fma_f64 v[121:122], v[121:122], v[16:17], -v[169:170]
	v_mul_f64 v[48:49], v[149:150], v[48:49]
	s_waitcnt vmcnt(6) lgkmcnt(2)
	v_mul_f64 v[169:170], v[163:164], v[52:53]
	v_fma_f64 v[84:85], v[84:85], v[4:5], v[6:7]
	ds_load_b128 v[4:7], v113 offset:9856
	v_fma_f64 v[88:89], v[88:89], v[12:13], v[14:15]
	ds_load_b128 v[12:15], v113 offset:11648
	v_fma_f64 v[125:126], v[125:126], v[20:21], -v[171:172]
	v_fma_f64 v[20:21], v[127:128], v[20:21], v[22:23]
	v_mul_f64 v[22:23], v[161:162], v[52:53]
	s_waitcnt vmcnt(5)
	v_mul_f64 v[52:53], v[139:140], v[56:57]
	v_fma_f64 v[129:130], v[129:130], v[24:25], -v[173:174]
	s_waitcnt vmcnt(4) lgkmcnt(2)
	v_mul_f64 v[127:128], v[80:81], v[60:61]
	v_mul_f64 v[60:61], v[78:79], v[60:61]
	v_fma_f64 v[24:25], v[131:132], v[24:25], v[26:27]
	v_mul_f64 v[26:27], v[137:138], v[56:57]
	v_fma_f64 v[123:124], v[123:124], v[16:17], v[18:19]
	ds_load_b128 v[16:19], v113 offset:12544
	s_waitcnt vmcnt(3)
	v_mul_f64 v[56:57], v[2:3], v[64:65]
	v_fma_f64 v[131:132], v[133:134], v[30:31], -v[175:176]
	v_fma_f64 v[30:31], v[135:136], v[30:31], v[32:33]
	v_mul_f64 v[32:33], v[0:1], v[64:65]
	v_fma_f64 v[135:136], v[153:154], v[38:39], -v[179:180]
	v_fma_f64 v[38:39], v[155:156], v[38:39], v[40:41]
	s_waitcnt vmcnt(1) lgkmcnt(2)
	v_mul_f64 v[133:134], v[6:7], v[72:73]
	v_mul_f64 v[40:41], v[4:5], v[72:73]
	s_waitcnt lgkmcnt(1)
	v_mul_f64 v[64:65], v[14:15], v[68:69]
	v_mul_f64 v[68:69], v[12:13], v[68:69]
	v_fma_f64 v[145:146], v[145:146], v[34:35], -v[165:166]
	v_fma_f64 v[34:35], v[147:148], v[34:35], v[36:37]
	v_fma_f64 v[36:37], v[157:158], v[42:43], -v[167:168]
	v_fma_f64 v[42:43], v[159:160], v[42:43], v[44:45]
	s_waitcnt vmcnt(0) lgkmcnt(0)
	v_mul_f64 v[72:73], v[18:19], v[76:77]
	v_mul_f64 v[76:77], v[16:17], v[76:77]
	v_fma_f64 v[44:45], v[149:150], v[46:47], -v[181:182]
	v_fma_f64 v[46:47], v[151:152], v[46:47], v[48:49]
	v_fma_f64 v[48:49], v[161:162], v[50:51], -v[169:170]
	v_fma_f64 v[22:23], v[163:164], v[50:51], v[22:23]
	v_fma_f64 v[50:51], v[137:138], v[54:55], -v[52:53]
	v_fma_f64 v[52:53], v[78:79], v[58:59], -v[127:128]
	v_fma_f64 v[58:59], v[80:81], v[58:59], v[60:61]
	v_fma_f64 v[26:27], v[139:140], v[54:55], v[26:27]
	v_add_f64 v[60:61], v[177:178], v[123:124]
	v_fma_f64 v[0:1], v[0:1], v[62:63], -v[56:57]
	v_add_f64 v[56:57], v[90:91], v[121:122]
	v_add_f64 v[90:91], v[90:91], -v[121:122]
	v_fma_f64 v[2:3], v[2:3], v[62:63], v[32:33]
	v_add_f64 v[62:63], v[82:83], v[86:87]
	v_add_f64 v[121:122], v[177:178], -v[123:124]
	v_fma_f64 v[40:41], v[6:7], v[70:71], v[40:41]
	v_fma_f64 v[32:33], v[12:13], v[66:67], -v[64:65]
	v_add_f64 v[64:65], v[84:85], v[88:89]
	v_fma_f64 v[54:55], v[14:15], v[66:67], v[68:69]
	v_fma_f64 v[66:67], v[4:5], v[70:71], -v[133:134]
	v_add_f64 v[68:69], v[125:126], v[135:136]
	v_add_f64 v[70:71], v[20:21], v[38:39]
	v_add_f64 v[20:21], v[20:21], -v[38:39]
	ds_load_b128 v[4:7], v115
	ds_load_b128 v[12:15], v114
	s_waitcnt lgkmcnt(0)
	v_add_f64 v[78:79], v[145:146], v[36:37]
	v_add_f64 v[80:81], v[34:35], v[42:43]
	v_fma_f64 v[16:17], v[16:17], v[74:75], -v[72:73]
	v_fma_f64 v[18:19], v[18:19], v[74:75], v[76:77]
	v_add_f64 v[72:73], v[129:130], v[131:132]
	v_add_f64 v[74:75], v[24:25], v[30:31]
	v_add_f64 v[76:77], v[82:83], -v[86:87]
	v_add_f64 v[82:83], v[84:85], -v[88:89]
	;; [unrolled: 1-line block ×6, first 2 shown]
	s_barrier
	v_add_f64 v[86:87], v[48:49], v[50:51]
	buffer_gl0_inv
	v_add_f64 v[42:43], v[44:45], v[52:53]
	v_add_f64 v[84:85], v[46:47], v[58:59]
	v_add_f64 v[38:39], v[44:45], -v[52:53]
	v_add_f64 v[88:89], v[22:23], v[26:27]
	v_add_f64 v[44:45], v[46:47], -v[58:59]
	v_add_f64 v[46:47], v[48:49], -v[50:51]
	;; [unrolled: 1-line block ×3, first 2 shown]
	v_add_f64 v[30:31], v[62:63], v[56:57]
	v_add_f64 v[123:124], v[0:1], v[32:33]
	v_add_f64 v[0:1], v[32:33], -v[0:1]
	v_add_f64 v[32:33], v[64:65], v[60:61]
	v_add_f64 v[127:128], v[2:3], v[54:55]
	v_add_f64 v[2:3], v[54:55], -v[2:3]
	v_add_f64 v[54:55], v[125:126], -v[135:136]
	;; [unrolled: 1-line block ×4, first 2 shown]
	v_add_f64 v[26:27], v[66:67], v[16:17]
	v_add_f64 v[48:49], v[40:41], v[18:19]
	;; [unrolled: 1-line block ×4, first 2 shown]
	v_add_f64 v[16:17], v[16:17], -v[66:67]
	v_add_f64 v[18:19], v[18:19], -v[40:41]
	v_add_f64 v[40:41], v[62:63], -v[56:57]
	v_add_f64 v[56:57], v[56:57], -v[78:79]
	v_add_f64 v[62:63], v[78:79], -v[62:63]
	v_add_f64 v[64:65], v[80:81], -v[64:65]
	v_add_f64 v[131:132], v[36:37], -v[76:77]
	v_add_f64 v[137:138], v[34:35], -v[82:83]
	v_add_f64 v[66:67], v[36:37], v[76:77]
	v_add_f64 v[133:134], v[86:87], v[42:43]
	;; [unrolled: 1-line block ×3, first 2 shown]
	v_add_f64 v[76:77], v[76:77], -v[90:91]
	v_add_f64 v[135:136], v[88:89], v[84:85]
	v_add_f64 v[82:83], v[82:83], -v[121:122]
	v_add_f64 v[139:140], v[72:73], -v[68:69]
	;; [unrolled: 1-line block ×6, first 2 shown]
	v_add_f64 v[30:31], v[78:79], v[30:31]
	v_add_f64 v[34:35], v[121:122], -v[34:35]
	v_add_f64 v[68:69], v[68:69], -v[123:124]
	v_add_f64 v[147:148], v[0:1], v[129:130]
	v_add_f64 v[32:33], v[80:81], v[32:33]
	v_add_f64 v[70:71], v[70:71], -v[127:128]
	v_add_f64 v[80:81], v[0:1], -v[129:130]
	;; [unrolled: 1-line block ×3, first 2 shown]
	v_add_f64 v[78:79], v[2:3], v[24:25]
	v_add_f64 v[129:130], v[129:130], -v[54:55]
	v_add_f64 v[24:25], v[24:25], -v[20:21]
	v_add_f64 v[72:73], v[123:124], -v[72:73]
	v_add_f64 v[74:75], v[127:128], -v[74:75]
	v_add_f64 v[42:43], v[42:43], -v[26:27]
	v_add_f64 v[84:85], v[84:85], -v[48:49]
	v_add_f64 v[50:51], v[123:124], v[50:51]
	v_add_f64 v[52:53], v[127:128], v[52:53]
	;; [unrolled: 1-line block ×3, first 2 shown]
	v_add_f64 v[86:87], v[26:27], -v[86:87]
	v_add_f64 v[127:128], v[16:17], -v[46:47]
	;; [unrolled: 1-line block ×4, first 2 shown]
	v_add_f64 v[123:124], v[18:19], v[22:23]
	v_add_f64 v[46:47], v[46:47], -v[38:39]
	v_add_f64 v[22:23], v[22:23], -v[44:45]
	;; [unrolled: 1-line block ×3, first 2 shown]
	v_add_f64 v[26:27], v[26:27], v[133:134]
	v_add_f64 v[153:154], v[20:21], -v[2:3]
	v_mul_f64 v[56:57], v[56:57], s[12:13]
	v_add_f64 v[48:49], v[48:49], v[135:136]
	v_mul_f64 v[60:61], v[60:61], s[12:13]
	v_mul_f64 v[133:134], v[62:63], s[2:3]
	v_mul_f64 v[135:136], v[64:65], s[2:3]
	v_mul_f64 v[131:132], v[131:132], s[18:19]
	v_mul_f64 v[137:138], v[137:138], s[18:19]
	v_add_f64 v[66:67], v[66:67], v[90:91]
	v_add_f64 v[0:1], v[141:142], v[30:31]
	v_add_f64 v[90:91], v[125:126], v[121:122]
	v_mul_f64 v[121:122], v[76:77], s[6:7]
	v_mul_f64 v[125:126], v[82:83], s[6:7]
	;; [unrolled: 1-line block ×3, first 2 shown]
	v_add_f64 v[54:55], v[147:148], v[54:55]
	v_add_f64 v[2:3], v[143:144], v[32:33]
	v_mul_f64 v[70:71], v[70:71], s[12:13]
	v_mul_f64 v[80:81], v[80:81], s[18:19]
	;; [unrolled: 1-line block ×3, first 2 shown]
	v_add_f64 v[20:21], v[78:79], v[20:21]
	v_mul_f64 v[78:79], v[129:130], s[6:7]
	v_mul_f64 v[149:150], v[24:25], s[6:7]
	;; [unrolled: 1-line block ×4, first 2 shown]
	v_add_f64 v[16:17], v[38:39], -v[16:17]
	v_add_f64 v[18:19], v[44:45], -v[18:19]
	v_add_f64 v[4:5], v[4:5], v[50:51]
	v_add_f64 v[6:7], v[6:7], v[52:53]
	;; [unrolled: 1-line block ×3, first 2 shown]
	v_mul_f64 v[42:43], v[42:43], s[12:13]
	v_mul_f64 v[84:85], v[84:85], s[12:13]
	;; [unrolled: 1-line block ×4, first 2 shown]
	v_add_f64 v[44:45], v[123:124], v[44:45]
	v_mul_f64 v[163:164], v[46:47], s[6:7]
	v_mul_f64 v[165:166], v[22:23], s[6:7]
	;; [unrolled: 1-line block ×3, first 2 shown]
	v_add_f64 v[12:13], v[12:13], v[26:27]
	v_mul_f64 v[161:162], v[88:89], s[2:3]
	v_fma_f64 v[62:63], v[62:63], s[2:3], v[56:57]
	v_add_f64 v[14:15], v[14:15], v[48:49]
	v_fma_f64 v[64:65], v[64:65], s[2:3], v[60:61]
	v_fma_f64 v[133:134], v[40:41], s[14:15], -v[133:134]
	v_fma_f64 v[135:136], v[58:59], s[14:15], -v[135:136]
	;; [unrolled: 1-line block ×4, first 2 shown]
	v_fma_f64 v[58:59], v[36:37], s[20:21], v[131:132]
	v_fma_f64 v[60:61], v[34:35], s[20:21], v[137:138]
	;; [unrolled: 1-line block ×3, first 2 shown]
	v_fma_f64 v[36:37], v[36:37], s[22:23], -v[121:122]
	v_fma_f64 v[34:35], v[34:35], s[22:23], -v[125:126]
	;; [unrolled: 1-line block ×4, first 2 shown]
	v_fma_f64 v[32:33], v[32:33], s[10:11], v[2:3]
	v_fma_f64 v[72:73], v[72:73], s[2:3], v[68:69]
	;; [unrolled: 1-line block ×5, first 2 shown]
	v_fma_f64 v[68:69], v[139:140], s[16:17], -v[68:69]
	v_fma_f64 v[80:81], v[129:130], s[6:7], -v[80:81]
	;; [unrolled: 1-line block ×6, first 2 shown]
	v_fma_f64 v[50:51], v[50:51], s[10:11], v[4:5]
	v_fma_f64 v[52:53], v[52:53], s[10:11], v[6:7]
	v_fma_f64 v[125:126], v[145:146], s[14:15], -v[143:144]
	v_fma_f64 v[24:25], v[24:25], s[6:7], -v[147:148]
	v_fma_f64 v[86:87], v[86:87], s[2:3], v[42:43]
	v_fma_f64 v[88:89], v[88:89], s[2:3], v[84:85]
	;; [unrolled: 1-line block ×4, first 2 shown]
	v_fma_f64 v[16:17], v[16:17], s[22:23], -v[163:164]
	v_fma_f64 v[18:19], v[18:19], s[22:23], -v[165:166]
	;; [unrolled: 1-line block ×3, first 2 shown]
	v_fma_f64 v[26:27], v[26:27], s[10:11], v[12:13]
	v_fma_f64 v[84:85], v[157:158], s[16:17], -v[84:85]
	v_fma_f64 v[123:124], v[155:156], s[14:15], -v[123:124]
	v_fma_f64 v[48:49], v[48:49], s[10:11], v[14:15]
	v_fma_f64 v[46:47], v[46:47], s[6:7], -v[127:128]
	v_fma_f64 v[22:23], v[22:23], s[6:7], -v[159:160]
	v_fma_f64 v[127:128], v[157:158], s[14:15], -v[161:162]
	v_fma_f64 v[58:59], v[66:67], s[24:25], v[58:59]
	v_fma_f64 v[60:61], v[90:91], s[24:25], v[60:61]
	v_add_f64 v[62:63], v[62:63], v[30:31]
	v_fma_f64 v[36:37], v[66:67], s[24:25], v[36:37]
	v_fma_f64 v[34:35], v[90:91], s[24:25], v[34:35]
	v_add_f64 v[40:41], v[40:41], v[30:31]
	v_fma_f64 v[76:77], v[66:67], s[24:25], v[76:77]
	v_add_f64 v[64:65], v[64:65], v[32:33]
	v_add_f64 v[56:57], v[56:57], v[32:33]
	v_fma_f64 v[82:83], v[90:91], s[24:25], v[82:83]
	v_add_f64 v[30:31], v[133:134], v[30:31]
	v_add_f64 v[32:33], v[135:136], v[32:33]
	v_fma_f64 v[66:67], v[54:55], s[24:25], v[131:132]
	v_fma_f64 v[90:91], v[20:21], s[24:25], v[137:138]
	;; [unrolled: 1-line block ×5, first 2 shown]
	v_add_f64 v[72:73], v[72:73], v[50:51]
	v_add_f64 v[74:75], v[74:75], v[52:53]
	;; [unrolled: 1-line block ×4, first 2 shown]
	v_fma_f64 v[131:132], v[20:21], s[24:25], v[24:25]
	v_add_f64 v[54:55], v[121:122], v[50:51]
	v_add_f64 v[121:122], v[125:126], v[52:53]
	v_fma_f64 v[125:126], v[38:39], s[24:25], v[139:140]
	v_fma_f64 v[133:134], v[44:45], s[24:25], v[141:142]
	v_fma_f64 v[139:140], v[38:39], s[24:25], v[16:17]
	v_fma_f64 v[141:142], v[44:45], s[24:25], v[18:19]
	v_add_f64 v[86:87], v[86:87], v[26:27]
	v_add_f64 v[143:144], v[42:43], v[26:27]
	;; [unrolled: 1-line block ×5, first 2 shown]
	v_fma_f64 v[135:136], v[38:39], s[24:25], v[46:47]
	v_fma_f64 v[137:138], v[44:45], s[24:25], v[22:23]
	v_add_f64 v[127:128], v[127:128], v[48:49]
	v_add_f64 v[16:17], v[60:61], v[62:63]
	;; [unrolled: 1-line block ×3, first 2 shown]
	v_add_f64 v[18:19], v[64:65], -v[58:59]
	v_add_f64 v[22:23], v[56:57], -v[36:37]
	v_add_f64 v[38:39], v[58:59], v[64:65]
	v_add_f64 v[24:25], v[30:31], -v[82:83]
	v_add_f64 v[26:27], v[76:77], v[32:33]
	v_add_f64 v[28:29], v[82:83], v[30:31]
	v_add_f64 v[30:31], v[32:33], -v[76:77]
	v_add_f64 v[32:33], v[40:41], -v[34:35]
	v_add_f64 v[34:35], v[36:37], v[56:57]
	v_add_f64 v[36:37], v[62:63], -v[60:61]
	v_add_f64 v[40:41], v[90:91], v[72:73]
	;; [unrolled: 2-line block ×3, first 2 shown]
	v_add_f64 v[46:47], v[70:71], -v[78:79]
	v_add_f64 v[56:57], v[68:69], -v[129:130]
	;; [unrolled: 1-line block ×3, first 2 shown]
	v_add_f64 v[50:51], v[80:81], v[121:122]
	v_add_f64 v[52:53], v[131:132], v[54:55]
	v_add_f64 v[54:55], v[121:122], -v[80:81]
	v_add_f64 v[58:59], v[78:79], v[70:71]
	v_add_f64 v[60:61], v[72:73], -v[90:91]
	v_add_f64 v[62:63], v[66:67], v[74:75]
	v_add_f64 v[64:65], v[133:134], v[86:87]
	;; [unrolled: 1-line block ×3, first 2 shown]
	v_add_f64 v[66:67], v[88:89], -v[125:126]
	v_add_f64 v[70:71], v[84:85], -v[139:140]
	v_add_f64 v[80:81], v[143:144], -v[141:142]
	v_add_f64 v[72:73], v[123:124], -v[137:138]
	v_add_f64 v[74:75], v[135:136], v[127:128]
	v_add_f64 v[76:77], v[137:138], v[123:124]
	v_add_f64 v[78:79], v[127:128], -v[135:136]
	v_add_f64 v[82:83], v[139:140], v[84:85]
	v_add_f64 v[84:85], v[86:87], -v[133:134]
	v_add_f64 v[86:87], v[125:126], v[88:89]
	v_mul_u32_u24_e32 v89, 0xa80, v102
	v_mul_u32_u24_e32 v90, 0xa80, v112
	;; [unrolled: 1-line block ×3, first 2 shown]
	s_delay_alu instid0(VALU_DEP_3) | instskip(NEXT) | instid1(VALU_DEP_3)
	v_add3_u32 v8, 0, v89, v8
	v_add3_u32 v9, 0, v90, v9
	ds_store_b128 v8, v[0:3]
	ds_store_b128 v8, v[16:19] offset:384
	ds_store_b128 v8, v[20:23] offset:768
	ds_store_b128 v8, v[24:27] offset:1152
	ds_store_b128 v8, v[28:31] offset:1536
	ds_store_b128 v8, v[32:35] offset:1920
	ds_store_b128 v8, v[36:39] offset:2304
	ds_store_b128 v9, v[4:7]
	ds_store_b128 v9, v[40:43] offset:384
	ds_store_b128 v9, v[44:47] offset:768
	ds_store_b128 v9, v[48:51] offset:1152
	ds_store_b128 v9, v[52:55] offset:1536
	ds_store_b128 v9, v[56:59] offset:1920
	ds_store_b128 v9, v[60:63] offset:2304
	;; [unrolled: 7-line block ×3, first 2 shown]
	v_mul_i32_i24_e32 v24, 6, v101
	v_dual_mov_b32 v25, 0 :: v_dual_lshlrev_b32 v88, 4, v88
	s_waitcnt lgkmcnt(0)
	s_barrier
	buffer_gl0_inv
	v_lshlrev_b64 v[16:17], 4, v[24:25]
	s_clause 0x3
	global_load_b128 v[0:3], v88, s[4:5] offset:2656
	global_load_b128 v[12:15], v88, s[4:5] offset:2672
	;; [unrolled: 1-line block ×4, first 2 shown]
	v_mul_i32_i24_e32 v24, 6, v111
	v_add_co_u32 v62, s1, s4, v16
	s_delay_alu instid0(VALU_DEP_1)
	v_add_co_ci_u32_e64 v63, s1, s5, v17, s1
	s_clause 0x2
	global_load_b128 v[20:23], v[62:63], off offset:2656
	global_load_b128 v[16:19], v[62:63], off offset:2672
	;; [unrolled: 1-line block ×3, first 2 shown]
	v_lshlrev_b64 v[38:39], 4, v[24:25]
	s_clause 0x1
	global_load_b128 v[30:33], v88, s[4:5] offset:2688
	global_load_b128 v[34:37], v[62:63], off offset:2720
	v_add_co_u32 v70, s1, s4, v38
	s_delay_alu instid0(VALU_DEP_1)
	v_add_co_ci_u32_e64 v71, s1, s5, v39, s1
	s_clause 0x8
	global_load_b128 v[38:41], v88, s[4:5] offset:2704
	global_load_b128 v[42:45], v[70:71], off offset:2656
	global_load_b128 v[46:49], v[70:71], off offset:2672
	;; [unrolled: 1-line block ×8, first 2 shown]
	ds_load_b128 v[74:77], v105
	ds_load_b128 v[78:81], v119
	ds_load_b128 v[82:85], v113 offset:13440
	ds_load_b128 v[86:89], v113 offset:16128
	;; [unrolled: 1-line block ×7, first 2 shown]
	ds_load_b128 v[141:144], v113
	ds_load_b128 v[145:148], v116
	ds_load_b128 v[149:152], v113 offset:4480
	ds_load_b128 v[153:156], v113 offset:10752
	;; [unrolled: 1-line block ×4, first 2 shown]
	s_waitcnt vmcnt(17) lgkmcnt(14)
	v_mul_f64 v[90:91], v[76:77], v[2:3]
	s_waitcnt vmcnt(15) lgkmcnt(12)
	v_mul_f64 v[167:168], v[84:85], v[10:11]
	v_mul_f64 v[169:170], v[82:83], v[10:11]
	s_waitcnt vmcnt(14) lgkmcnt(11)
	v_mul_f64 v[171:172], v[88:89], v[6:7]
	v_mul_f64 v[6:7], v[86:87], v[6:7]
	;; [unrolled: 1-line block ×5, first 2 shown]
	s_waitcnt vmcnt(13) lgkmcnt(10)
	v_mul_f64 v[173:174], v[123:124], v[22:23]
	v_mul_f64 v[22:23], v[121:122], v[22:23]
	s_waitcnt vmcnt(12) lgkmcnt(9)
	v_mul_f64 v[175:176], v[127:128], v[18:19]
	v_mul_f64 v[18:19], v[125:126], v[18:19]
	;; [unrolled: 3-line block ×4, first 2 shown]
	v_fma_f64 v[90:91], v[74:75], v[0:1], -v[90:91]
	v_fma_f64 v[82:83], v[82:83], v[8:9], -v[167:168]
	v_fma_f64 v[8:9], v[84:85], v[8:9], v[169:170]
	s_waitcnt vmcnt(9)
	v_mul_f64 v[84:85], v[131:132], v[36:37]
	v_mul_f64 v[36:37], v[129:130], v[36:37]
	s_waitcnt vmcnt(8) lgkmcnt(2)
	v_mul_f64 v[167:168], v[155:156], v[40:41]
	v_fma_f64 v[86:87], v[86:87], v[4:5], -v[171:172]
	v_fma_f64 v[4:5], v[88:89], v[4:5], v[6:7]
	v_mul_f64 v[6:7], v[153:154], v[40:41]
	s_waitcnt vmcnt(7)
	v_mul_f64 v[40:41], v[151:152], v[44:45]
	v_mul_f64 v[44:45], v[149:150], v[44:45]
	s_waitcnt vmcnt(6) lgkmcnt(1)
	v_mul_f64 v[88:89], v[159:160], v[48:49]
	v_fma_f64 v[121:122], v[121:122], v[20:21], -v[173:174]
	v_fma_f64 v[20:21], v[123:124], v[20:21], v[22:23]
	v_mul_f64 v[22:23], v[157:158], v[48:49]
	s_waitcnt vmcnt(5)
	v_mul_f64 v[48:49], v[135:136], v[52:53]
	s_waitcnt vmcnt(4) lgkmcnt(0)
	v_mul_f64 v[123:124], v[163:164], v[56:57]
	v_mul_f64 v[56:57], v[161:162], v[56:57]
	v_fma_f64 v[125:126], v[125:126], v[16:17], -v[175:176]
	v_fma_f64 v[16:17], v[127:128], v[16:17], v[18:19]
	v_mul_f64 v[18:19], v[133:134], v[52:53]
	v_fma_f64 v[179:180], v[76:77], v[0:1], v[2:3]
	ds_load_b128 v[0:3], v113 offset:8960
	ds_load_b128 v[74:77], v113 offset:9856
	v_fma_f64 v[165:166], v[78:79], v[12:13], -v[165:166]
	v_fma_f64 v[14:15], v[80:81], v[12:13], v[14:15]
	ds_load_b128 v[10:13], v113 offset:11648
	ds_load_b128 v[78:81], v113 offset:12544
	v_fma_f64 v[137:138], v[137:138], v[26:27], -v[177:178]
	v_fma_f64 v[26:27], v[139:140], v[26:27], v[28:29]
	s_waitcnt vmcnt(3) lgkmcnt(3)
	v_mul_f64 v[52:53], v[2:3], v[60:61]
	v_mul_f64 v[60:61], v[0:1], v[60:61]
	v_fma_f64 v[84:85], v[129:130], v[34:35], -v[84:85]
	s_waitcnt vmcnt(2) lgkmcnt(1)
	v_mul_f64 v[28:29], v[10:11], v[64:65]
	v_mul_f64 v[127:128], v[12:13], v[64:65]
	s_waitcnt vmcnt(1)
	v_mul_f64 v[64:65], v[76:77], v[68:69]
	v_mul_f64 v[68:69], v[74:75], v[68:69]
	s_waitcnt vmcnt(0) lgkmcnt(0)
	v_mul_f64 v[139:140], v[80:81], v[72:73]
	v_fma_f64 v[34:35], v[131:132], v[34:35], v[36:37]
	v_mul_f64 v[36:37], v[78:79], v[72:73]
	v_fma_f64 v[72:73], v[145:146], v[30:31], -v[181:182]
	v_fma_f64 v[30:31], v[147:148], v[30:31], v[32:33]
	v_fma_f64 v[32:33], v[153:154], v[38:39], -v[167:168]
	v_fma_f64 v[6:7], v[155:156], v[38:39], v[6:7]
	;; [unrolled: 2-line block ×6, first 2 shown]
	v_add_f64 v[54:55], v[179:180], v[4:5]
	v_add_f64 v[56:57], v[165:166], v[82:83]
	v_fma_f64 v[50:51], v[0:1], v[58:59], -v[52:53]
	v_fma_f64 v[52:53], v[2:3], v[58:59], v[60:61]
	v_add_f64 v[58:59], v[14:15], v[8:9]
	v_fma_f64 v[12:13], v[12:13], v[62:63], v[28:29]
	v_add_f64 v[28:29], v[90:91], v[86:87]
	v_fma_f64 v[10:11], v[10:11], v[62:63], -v[127:128]
	v_fma_f64 v[60:61], v[74:75], v[66:67], -v[64:65]
	v_fma_f64 v[62:63], v[76:77], v[66:67], v[68:69]
	v_fma_f64 v[64:65], v[78:79], v[70:71], -v[139:140]
	v_fma_f64 v[36:37], v[80:81], v[70:71], v[36:37]
	v_add_f64 v[66:67], v[121:122], v[137:138]
	v_add_f64 v[68:69], v[20:21], v[26:27]
	;; [unrolled: 1-line block ×4, first 2 shown]
	v_add_f64 v[76:77], v[165:166], -v[82:83]
	v_add_f64 v[8:9], v[14:15], -v[8:9]
	v_add_f64 v[14:15], v[72:73], v[32:33]
	v_add_f64 v[32:33], v[32:33], -v[72:73]
	v_add_f64 v[72:73], v[38:39], v[44:45]
	v_add_f64 v[80:81], v[40:41], v[46:47]
	;; [unrolled: 1-line block ×5, first 2 shown]
	v_add_f64 v[30:31], v[6:7], -v[30:31]
	v_add_f64 v[84:85], v[125:126], -v[84:85]
	;; [unrolled: 1-line block ×10, first 2 shown]
	ds_load_b128 v[0:3], v115
	ds_load_b128 v[4:7], v114
	s_waitcnt lgkmcnt(0)
	s_barrier
	buffer_gl0_inv
	v_add_f64 v[125:126], v[58:59], v[54:55]
	v_add_f64 v[127:128], v[52:53], v[12:13]
	;; [unrolled: 1-line block ×4, first 2 shown]
	v_add_f64 v[10:11], v[10:11], -v[50:51]
	v_add_f64 v[12:13], v[12:13], -v[52:53]
	;; [unrolled: 1-line block ×3, first 2 shown]
	v_add_f64 v[22:23], v[60:61], v[64:65]
	v_add_f64 v[42:43], v[62:63], v[36:37]
	v_add_f64 v[48:49], v[64:65], -v[60:61]
	v_add_f64 v[44:45], v[70:71], v[66:67]
	v_add_f64 v[46:47], v[74:75], v[68:69]
	v_add_f64 v[36:37], v[36:37], -v[62:63]
	v_add_f64 v[52:53], v[56:57], -v[28:29]
	v_add_f64 v[60:61], v[58:59], -v[54:55]
	v_add_f64 v[28:29], v[28:29], -v[14:15]
	v_add_f64 v[56:57], v[14:15], -v[56:57]
	v_add_f64 v[131:132], v[32:33], -v[76:77]
	v_add_f64 v[121:122], v[82:83], v[72:73]
	v_add_f64 v[129:130], v[88:89], v[80:81]
	v_add_f64 v[54:55], v[54:55], -v[78:79]
	v_add_f64 v[58:59], v[78:79], -v[58:59]
	;; [unrolled: 1-line block ×3, first 2 shown]
	v_add_f64 v[62:63], v[32:33], v[76:77]
	v_add_f64 v[64:65], v[30:31], v[8:9]
	v_add_f64 v[76:77], v[76:77], -v[86:87]
	v_add_f64 v[135:136], v[8:9], -v[90:91]
	;; [unrolled: 1-line block ×9, first 2 shown]
	v_add_f64 v[14:15], v[14:15], v[34:35]
	v_add_f64 v[34:35], v[78:79], v[125:126]
	v_add_f64 v[66:67], v[66:67], -v[123:124]
	v_add_f64 v[145:146], v[10:11], -v[84:85]
	;; [unrolled: 1-line block ×3, first 2 shown]
	v_add_f64 v[78:79], v[10:11], v[84:85]
	v_add_f64 v[125:126], v[12:13], v[16:17]
	v_add_f64 v[84:85], v[84:85], -v[50:51]
	v_add_f64 v[44:45], v[123:124], v[44:45]
	v_add_f64 v[46:47], v[127:128], v[46:47]
	v_add_f64 v[16:17], v[16:17], -v[20:21]
	v_add_f64 v[70:71], v[123:124], -v[70:71]
	;; [unrolled: 1-line block ×3, first 2 shown]
	v_add_f64 v[123:124], v[48:49], v[40:41]
	v_add_f64 v[127:128], v[36:37], v[18:19]
	v_add_f64 v[72:73], v[72:73], -v[22:23]
	v_add_f64 v[80:81], v[80:81], -v[42:43]
	;; [unrolled: 1-line block ×6, first 2 shown]
	v_add_f64 v[22:23], v[22:23], v[121:122]
	v_add_f64 v[42:43], v[42:43], v[129:130]
	v_add_f64 v[40:41], v[40:41], -v[26:27]
	v_add_f64 v[18:19], v[18:19], -v[38:39]
	v_add_f64 v[149:150], v[50:51], -v[10:11]
	v_mul_f64 v[28:29], v[28:29], s[12:13]
	v_mul_f64 v[54:55], v[54:55], s[12:13]
	;; [unrolled: 1-line block ×6, first 2 shown]
	v_add_f64 v[62:63], v[62:63], v[86:87]
	v_add_f64 v[64:65], v[64:65], v[90:91]
	v_mul_f64 v[86:87], v[76:77], s[6:7]
	v_mul_f64 v[90:91], v[135:136], s[6:7]
	v_add_f64 v[12:13], v[20:21], -v[12:13]
	v_mul_f64 v[68:69], v[68:69], s[12:13]
	v_add_f64 v[8:9], v[141:142], v[14:15]
	v_add_f64 v[10:11], v[143:144], v[34:35]
	v_mul_f64 v[66:67], v[66:67], s[12:13]
	v_mul_f64 v[145:146], v[145:146], s[18:19]
	;; [unrolled: 1-line block ×3, first 2 shown]
	v_add_f64 v[50:51], v[78:79], v[50:51]
	v_add_f64 v[20:21], v[125:126], v[20:21]
	v_mul_f64 v[78:79], v[84:85], s[6:7]
	v_add_f64 v[0:1], v[0:1], v[44:45]
	v_add_f64 v[2:3], v[2:3], v[46:47]
	v_mul_f64 v[125:126], v[16:17], s[6:7]
	v_mul_f64 v[141:142], v[70:71], s[2:3]
	;; [unrolled: 1-line block ×3, first 2 shown]
	v_add_f64 v[48:49], v[26:27], -v[48:49]
	v_add_f64 v[36:37], v[38:39], -v[36:37]
	v_add_f64 v[26:27], v[123:124], v[26:27]
	v_add_f64 v[38:39], v[127:128], v[38:39]
	v_mul_f64 v[72:73], v[72:73], s[12:13]
	v_mul_f64 v[80:81], v[80:81], s[12:13]
	;; [unrolled: 1-line block ×4, first 2 shown]
	v_add_f64 v[4:5], v[4:5], v[22:23]
	v_add_f64 v[6:7], v[6:7], v[42:43]
	v_mul_f64 v[159:160], v[40:41], s[6:7]
	v_mul_f64 v[161:162], v[18:19], s[6:7]
	v_mul_f64 v[155:156], v[82:83], s[2:3]
	v_mul_f64 v[157:158], v[88:89], s[2:3]
	v_fma_f64 v[56:57], v[56:57], s[2:3], v[28:29]
	v_fma_f64 v[58:59], v[58:59], s[2:3], v[54:55]
	v_fma_f64 v[121:122], v[52:53], s[14:15], -v[121:122]
	v_fma_f64 v[129:130], v[60:61], s[14:15], -v[129:130]
	;; [unrolled: 1-line block ×4, first 2 shown]
	v_fma_f64 v[54:55], v[32:33], s[20:21], v[131:132]
	v_fma_f64 v[60:61], v[30:31], s[20:21], v[133:134]
	v_fma_f64 v[76:77], v[76:77], s[6:7], -v[131:132]
	v_fma_f64 v[32:33], v[32:33], s[22:23], -v[86:87]
	;; [unrolled: 1-line block ×3, first 2 shown]
	v_fma_f64 v[14:15], v[14:15], s[10:11], v[8:9]
	v_fma_f64 v[34:35], v[34:35], s[10:11], v[10:11]
	v_fma_f64 v[131:132], v[135:136], s[6:7], -v[133:134]
	v_fma_f64 v[70:71], v[70:71], s[2:3], v[66:67]
	v_fma_f64 v[74:75], v[74:75], s[2:3], v[68:69]
	;; [unrolled: 1-line block ×4, first 2 shown]
	v_fma_f64 v[78:79], v[149:150], s[22:23], -v[78:79]
	v_fma_f64 v[44:45], v[44:45], s[10:11], v[0:1]
	v_fma_f64 v[46:47], v[46:47], s[10:11], v[2:3]
	v_fma_f64 v[12:13], v[12:13], s[22:23], -v[125:126]
	v_fma_f64 v[66:67], v[137:138], s[16:17], -v[66:67]
	;; [unrolled: 1-line block ×7, first 2 shown]
	v_fma_f64 v[82:83], v[82:83], s[2:3], v[72:73]
	v_fma_f64 v[88:89], v[88:89], s[2:3], v[80:81]
	;; [unrolled: 1-line block ×6, first 2 shown]
	v_fma_f64 v[48:49], v[48:49], s[22:23], -v[159:160]
	v_fma_f64 v[36:37], v[36:37], s[22:23], -v[161:162]
	;; [unrolled: 1-line block ×8, first 2 shown]
	s_add_u32 s2, s4, 0x4960
	s_addc_u32 s3, s5, 0
	v_fma_f64 v[54:55], v[62:63], s[24:25], v[54:55]
	v_fma_f64 v[60:61], v[64:65], s[24:25], v[60:61]
	;; [unrolled: 1-line block ×5, first 2 shown]
	v_add_f64 v[56:57], v[56:57], v[14:15]
	v_add_f64 v[58:59], v[58:59], v[34:35]
	v_add_f64 v[62:63], v[28:29], v[14:15]
	v_add_f64 v[52:53], v[52:53], v[34:35]
	v_fma_f64 v[131:132], v[64:65], s[24:25], v[131:132]
	v_add_f64 v[28:29], v[121:122], v[14:15]
	v_add_f64 v[34:35], v[129:130], v[34:35]
	v_fma_f64 v[64:65], v[50:51], s[24:25], v[133:134]
	v_fma_f64 v[121:122], v[20:21], s[24:25], v[135:136]
	v_add_f64 v[70:71], v[70:71], v[44:45]
	v_add_f64 v[74:75], v[74:75], v[46:47]
	v_fma_f64 v[78:79], v[50:51], s[24:25], v[78:79]
	;; [unrolled: 4-line block ×6, first 2 shown]
	v_fma_f64 v[137:138], v[38:39], s[24:25], v[18:19]
	v_add_f64 v[123:124], v[123:124], v[22:23]
	v_add_f64 v[127:128], v[127:128], v[42:43]
	s_mov_b32 s4, exec_lo
	v_add_f64 v[12:13], v[60:61], v[56:57]
	v_add_f64 v[14:15], v[58:59], -v[54:55]
	v_add_f64 v[16:17], v[30:31], v[62:63]
	v_add_f64 v[18:19], v[52:53], -v[32:33]
	v_add_f64 v[30:31], v[62:63], -v[30:31]
	v_add_f64 v[20:21], v[28:29], -v[131:132]
	v_add_f64 v[22:23], v[76:77], v[34:35]
	v_add_f64 v[26:27], v[131:132], v[28:29]
	v_add_f64 v[28:29], v[34:35], -v[76:77]
	v_add_f64 v[32:33], v[32:33], v[52:53]
	v_add_f64 v[34:35], v[56:57], -v[60:61]
	v_add_f64 v[36:37], v[54:55], v[58:59]
	v_add_f64 v[38:39], v[121:122], v[70:71]
	v_add_f64 v[40:41], v[74:75], -v[64:65]
	v_add_f64 v[42:43], v[133:134], v[66:67]
	v_add_f64 v[44:45], v[68:69], -v[78:79]
	v_add_f64 v[54:55], v[66:67], -v[133:134]
	v_add_f64 v[46:47], v[50:51], -v[129:130]
	v_add_f64 v[48:49], v[84:85], v[86:87]
	v_add_f64 v[50:51], v[129:130], v[50:51]
	v_add_f64 v[52:53], v[86:87], -v[84:85]
	v_add_f64 v[56:57], v[78:79], v[68:69]
	v_add_f64 v[58:59], v[70:71], -v[121:122]
	v_add_f64 v[60:61], v[64:65], v[74:75]
	;; [unrolled: 12-line block ×3, first 2 shown]
	ds_store_b128 v113, v[8:11]
	ds_store_b128 v113, v[12:15] offset:2688
	ds_store_b128 v113, v[16:19] offset:5376
	ds_store_b128 v113, v[20:23] offset:8064
	ds_store_b128 v113, v[26:29] offset:10752
	ds_store_b128 v113, v[30:33] offset:13440
	ds_store_b128 v113, v[34:37] offset:16128
	ds_store_b128 v115, v[0:3]
	ds_store_b128 v115, v[38:41] offset:2688
	ds_store_b128 v115, v[42:45] offset:5376
	ds_store_b128 v115, v[46:49] offset:8064
	ds_store_b128 v115, v[50:53] offset:10752
	ds_store_b128 v115, v[54:57] offset:13440
	ds_store_b128 v115, v[58:61] offset:16128
	;; [unrolled: 7-line block ×3, first 2 shown]
	s_waitcnt lgkmcnt(0)
	s_barrier
	buffer_gl0_inv
	ds_load_b128 v[4:7], v113
	v_sub_nc_u32_e32 v10, 0, v93
                                        ; implicit-def: $vgpr2_vgpr3
                                        ; implicit-def: $vgpr8_vgpr9
	v_cmpx_ne_u32_e32 0, v92
	s_xor_b32 s4, exec_lo, s4
	s_cbranch_execz .LBB0_25
; %bb.24:
	v_mov_b32_e32 v93, v25
	s_delay_alu instid0(VALU_DEP_1) | instskip(NEXT) | instid1(VALU_DEP_1)
	v_lshlrev_b64 v[0:1], 4, v[92:93]
	v_add_co_u32 v0, s1, s2, v0
	s_delay_alu instid0(VALU_DEP_1)
	v_add_co_ci_u32_e64 v1, s1, s3, v1, s1
	global_load_b128 v[11:14], v[0:1], off
	ds_load_b128 v[0:3], v10 offset:18816
	s_waitcnt lgkmcnt(0)
	v_add_f64 v[8:9], v[4:5], -v[0:1]
	v_add_f64 v[15:16], v[6:7], v[2:3]
	v_add_f64 v[2:3], v[6:7], -v[2:3]
	v_add_f64 v[0:1], v[4:5], v[0:1]
	s_delay_alu instid0(VALU_DEP_4) | instskip(NEXT) | instid1(VALU_DEP_4)
	v_mul_f64 v[6:7], v[8:9], 0.5
	v_mul_f64 v[4:5], v[15:16], 0.5
	s_delay_alu instid0(VALU_DEP_4) | instskip(SKIP_1) | instid1(VALU_DEP_3)
	v_mul_f64 v[2:3], v[2:3], 0.5
	s_waitcnt vmcnt(0)
	v_mul_f64 v[8:9], v[6:7], v[13:14]
	s_delay_alu instid0(VALU_DEP_2) | instskip(SKIP_1) | instid1(VALU_DEP_3)
	v_fma_f64 v[15:16], v[4:5], v[13:14], v[2:3]
	v_fma_f64 v[2:3], v[4:5], v[13:14], -v[2:3]
	v_fma_f64 v[17:18], v[0:1], 0.5, v[8:9]
	v_fma_f64 v[0:1], v[0:1], 0.5, -v[8:9]
	s_delay_alu instid0(VALU_DEP_4) | instskip(NEXT) | instid1(VALU_DEP_4)
	v_fma_f64 v[8:9], -v[11:12], v[6:7], v[15:16]
	v_fma_f64 v[2:3], -v[11:12], v[6:7], v[2:3]
	s_delay_alu instid0(VALU_DEP_4) | instskip(NEXT) | instid1(VALU_DEP_4)
	v_fma_f64 v[13:14], v[4:5], v[11:12], v[17:18]
	v_fma_f64 v[0:1], -v[4:5], v[11:12], v[0:1]
                                        ; implicit-def: $vgpr4_vgpr5
	ds_store_b64 v113, v[13:14]
.LBB0_25:
	s_and_not1_saveexec_b32 s1, s4
	s_cbranch_execz .LBB0_27
; %bb.26:
	s_waitcnt lgkmcnt(0)
	v_add_f64 v[11:12], v[4:5], v[6:7]
	v_add_f64 v[0:1], v[4:5], -v[6:7]
	v_mov_b32_e32 v6, 0
	v_mov_b32_e32 v8, 0
	;; [unrolled: 1-line block ×3, first 2 shown]
	s_delay_alu instid0(VALU_DEP_2)
	v_mov_b32_e32 v2, v8
	ds_load_b64 v[4:5], v6 offset:9416
	v_mov_b32_e32 v3, v9
	s_waitcnt lgkmcnt(0)
	v_xor_b32_e32 v5, 0x80000000, v5
	ds_store_b64 v113, v[11:12]
	ds_store_b64 v6, v[4:5] offset:9416
.LBB0_27:
	s_or_b32 exec_lo, exec_lo, s1
	v_mov_b32_e32 v102, 0
	s_waitcnt lgkmcnt(0)
	s_delay_alu instid0(VALU_DEP_1) | instskip(SKIP_1) | instid1(VALU_DEP_1)
	v_lshlrev_b64 v[4:5], 4, v[101:102]
	v_mov_b32_e32 v112, v102
	v_lshlrev_b64 v[11:12], 4, v[111:112]
	s_delay_alu instid0(VALU_DEP_3) | instskip(NEXT) | instid1(VALU_DEP_1)
	v_add_co_u32 v4, s1, s2, v4
	v_add_co_ci_u32_e64 v5, s1, s3, v5, s1
	v_mov_b32_e32 v111, v102
	s_delay_alu instid0(VALU_DEP_4)
	v_add_co_u32 v11, s1, s2, v11
	global_load_b128 v[4:7], v[4:5], off
	v_add_co_ci_u32_e64 v12, s1, s3, v12, s1
	global_load_b128 v[11:14], v[11:12], off
	ds_store_b64 v113, v[8:9] offset:8
	ds_store_b128 v10, v[0:3] offset:18816
	ds_load_b128 v[0:3], v115
	ds_load_b128 v[15:18], v10 offset:17920
	s_waitcnt lgkmcnt(0)
	v_add_f64 v[8:9], v[0:1], -v[15:16]
	v_add_f64 v[19:20], v[2:3], v[17:18]
	v_add_f64 v[2:3], v[2:3], -v[17:18]
	v_add_f64 v[0:1], v[0:1], v[15:16]
	s_delay_alu instid0(VALU_DEP_4) | instskip(NEXT) | instid1(VALU_DEP_4)
	v_mul_f64 v[8:9], v[8:9], 0.5
	v_mul_f64 v[17:18], v[19:20], 0.5
	s_delay_alu instid0(VALU_DEP_4) | instskip(SKIP_1) | instid1(VALU_DEP_3)
	v_mul_f64 v[2:3], v[2:3], 0.5
	s_waitcnt vmcnt(1)
	v_mul_f64 v[15:16], v[8:9], v[6:7]
	s_delay_alu instid0(VALU_DEP_2) | instskip(SKIP_1) | instid1(VALU_DEP_3)
	v_fma_f64 v[19:20], v[17:18], v[6:7], v[2:3]
	v_fma_f64 v[6:7], v[17:18], v[6:7], -v[2:3]
	v_fma_f64 v[21:22], v[0:1], 0.5, v[15:16]
	v_fma_f64 v[15:16], v[0:1], 0.5, -v[15:16]
	s_delay_alu instid0(VALU_DEP_4) | instskip(NEXT) | instid1(VALU_DEP_4)
	v_fma_f64 v[2:3], -v[4:5], v[8:9], v[19:20]
	v_fma_f64 v[6:7], -v[4:5], v[8:9], v[6:7]
	v_lshlrev_b64 v[8:9], 4, v[110:111]
	v_mov_b32_e32 v110, v102
	s_delay_alu instid0(VALU_DEP_2) | instskip(NEXT) | instid1(VALU_DEP_1)
	v_add_co_u32 v8, s1, s2, v8
	v_add_co_ci_u32_e64 v9, s1, s3, v9, s1
	v_fma_f64 v[0:1], v[17:18], v[4:5], v[21:22]
	v_fma_f64 v[4:5], -v[17:18], v[4:5], v[15:16]
	global_load_b128 v[15:18], v[8:9], off
	ds_store_b128 v115, v[0:3]
	ds_store_b128 v10, v[4:7] offset:17920
	ds_load_b128 v[0:3], v114
	ds_load_b128 v[4:7], v10 offset:17024
	s_waitcnt lgkmcnt(0)
	v_add_f64 v[8:9], v[0:1], -v[4:5]
	v_add_f64 v[19:20], v[2:3], v[6:7]
	v_add_f64 v[2:3], v[2:3], -v[6:7]
	v_add_f64 v[0:1], v[0:1], v[4:5]
	s_delay_alu instid0(VALU_DEP_4) | instskip(NEXT) | instid1(VALU_DEP_4)
	v_mul_f64 v[6:7], v[8:9], 0.5
	v_mul_f64 v[8:9], v[19:20], 0.5
	s_delay_alu instid0(VALU_DEP_4) | instskip(SKIP_1) | instid1(VALU_DEP_3)
	v_mul_f64 v[2:3], v[2:3], 0.5
	s_waitcnt vmcnt(1)
	v_mul_f64 v[4:5], v[6:7], v[13:14]
	s_delay_alu instid0(VALU_DEP_2) | instskip(SKIP_1) | instid1(VALU_DEP_3)
	v_fma_f64 v[19:20], v[8:9], v[13:14], v[2:3]
	v_fma_f64 v[13:14], v[8:9], v[13:14], -v[2:3]
	v_fma_f64 v[21:22], v[0:1], 0.5, v[4:5]
	v_fma_f64 v[4:5], v[0:1], 0.5, -v[4:5]
	s_delay_alu instid0(VALU_DEP_4) | instskip(NEXT) | instid1(VALU_DEP_4)
	v_fma_f64 v[2:3], -v[11:12], v[6:7], v[19:20]
	v_fma_f64 v[6:7], -v[11:12], v[6:7], v[13:14]
	s_delay_alu instid0(VALU_DEP_4) | instskip(NEXT) | instid1(VALU_DEP_4)
	v_fma_f64 v[0:1], v[8:9], v[11:12], v[21:22]
	v_fma_f64 v[4:5], -v[8:9], v[11:12], v[4:5]
	v_lshlrev_b64 v[8:9], 4, v[109:110]
	v_mov_b32_e32 v109, v102
	s_delay_alu instid0(VALU_DEP_2) | instskip(NEXT) | instid1(VALU_DEP_1)
	v_add_co_u32 v8, s1, s2, v8
	v_add_co_ci_u32_e64 v9, s1, s3, v9, s1
	global_load_b128 v[11:14], v[8:9], off
	ds_store_b128 v114, v[0:3]
	ds_store_b128 v10, v[4:7] offset:17024
	ds_load_b128 v[0:3], v105
	ds_load_b128 v[4:7], v10 offset:16128
	s_waitcnt lgkmcnt(0)
	v_add_f64 v[8:9], v[0:1], -v[4:5]
	v_add_f64 v[19:20], v[2:3], v[6:7]
	v_add_f64 v[2:3], v[2:3], -v[6:7]
	v_add_f64 v[0:1], v[0:1], v[4:5]
	s_delay_alu instid0(VALU_DEP_4) | instskip(NEXT) | instid1(VALU_DEP_4)
	v_mul_f64 v[6:7], v[8:9], 0.5
	v_mul_f64 v[8:9], v[19:20], 0.5
	s_delay_alu instid0(VALU_DEP_4) | instskip(SKIP_1) | instid1(VALU_DEP_3)
	v_mul_f64 v[2:3], v[2:3], 0.5
	s_waitcnt vmcnt(1)
	v_mul_f64 v[4:5], v[6:7], v[17:18]
	s_delay_alu instid0(VALU_DEP_2) | instskip(SKIP_1) | instid1(VALU_DEP_3)
	v_fma_f64 v[19:20], v[8:9], v[17:18], v[2:3]
	v_fma_f64 v[17:18], v[8:9], v[17:18], -v[2:3]
	v_fma_f64 v[21:22], v[0:1], 0.5, v[4:5]
	v_fma_f64 v[4:5], v[0:1], 0.5, -v[4:5]
	s_delay_alu instid0(VALU_DEP_4) | instskip(NEXT) | instid1(VALU_DEP_4)
	v_fma_f64 v[2:3], -v[15:16], v[6:7], v[19:20]
	v_fma_f64 v[6:7], -v[15:16], v[6:7], v[17:18]
	s_delay_alu instid0(VALU_DEP_4) | instskip(NEXT) | instid1(VALU_DEP_4)
	v_fma_f64 v[0:1], v[8:9], v[15:16], v[21:22]
	v_fma_f64 v[4:5], -v[8:9], v[15:16], v[4:5]
	v_lshlrev_b64 v[8:9], 4, v[108:109]
	v_mov_b32_e32 v108, v102
	s_delay_alu instid0(VALU_DEP_2) | instskip(NEXT) | instid1(VALU_DEP_1)
	v_add_co_u32 v8, s1, s2, v8
	v_add_co_ci_u32_e64 v9, s1, s3, v9, s1
	global_load_b128 v[15:18], v[8:9], off
	ds_store_b128 v105, v[0:3]
	ds_store_b128 v10, v[4:7] offset:16128
	ds_load_b128 v[0:3], v97
	ds_load_b128 v[4:7], v10 offset:15232
	v_mov_b32_e32 v105, v102
	s_waitcnt lgkmcnt(0)
	v_add_f64 v[8:9], v[0:1], -v[4:5]
	v_add_f64 v[19:20], v[2:3], v[6:7]
	v_add_f64 v[2:3], v[2:3], -v[6:7]
	v_add_f64 v[0:1], v[0:1], v[4:5]
	s_delay_alu instid0(VALU_DEP_4) | instskip(NEXT) | instid1(VALU_DEP_4)
	v_mul_f64 v[6:7], v[8:9], 0.5
	v_mul_f64 v[8:9], v[19:20], 0.5
	s_delay_alu instid0(VALU_DEP_4) | instskip(SKIP_1) | instid1(VALU_DEP_3)
	v_mul_f64 v[2:3], v[2:3], 0.5
	s_waitcnt vmcnt(1)
	v_mul_f64 v[4:5], v[6:7], v[13:14]
	s_delay_alu instid0(VALU_DEP_2) | instskip(SKIP_1) | instid1(VALU_DEP_3)
	v_fma_f64 v[19:20], v[8:9], v[13:14], v[2:3]
	v_fma_f64 v[13:14], v[8:9], v[13:14], -v[2:3]
	v_fma_f64 v[21:22], v[0:1], 0.5, v[4:5]
	v_fma_f64 v[4:5], v[0:1], 0.5, -v[4:5]
	s_delay_alu instid0(VALU_DEP_4) | instskip(NEXT) | instid1(VALU_DEP_4)
	v_fma_f64 v[2:3], -v[11:12], v[6:7], v[19:20]
	v_fma_f64 v[6:7], -v[11:12], v[6:7], v[13:14]
	s_delay_alu instid0(VALU_DEP_4) | instskip(NEXT) | instid1(VALU_DEP_4)
	v_fma_f64 v[0:1], v[8:9], v[11:12], v[21:22]
	v_fma_f64 v[4:5], -v[8:9], v[11:12], v[4:5]
	v_lshlrev_b64 v[8:9], 4, v[107:108]
	v_mov_b32_e32 v107, v102
	s_delay_alu instid0(VALU_DEP_2) | instskip(NEXT) | instid1(VALU_DEP_1)
	v_add_co_u32 v8, s1, s2, v8
	v_add_co_ci_u32_e64 v9, s1, s3, v9, s1
	global_load_b128 v[11:14], v[8:9], off
	ds_store_b128 v97, v[0:3]
	ds_store_b128 v10, v[4:7] offset:15232
	ds_load_b128 v[0:3], v120
	ds_load_b128 v[4:7], v10 offset:14336
	s_waitcnt lgkmcnt(0)
	v_add_f64 v[8:9], v[0:1], -v[4:5]
	v_add_f64 v[19:20], v[2:3], v[6:7]
	v_add_f64 v[2:3], v[2:3], -v[6:7]
	v_add_f64 v[0:1], v[0:1], v[4:5]
	s_delay_alu instid0(VALU_DEP_4) | instskip(NEXT) | instid1(VALU_DEP_4)
	v_mul_f64 v[6:7], v[8:9], 0.5
	v_mul_f64 v[8:9], v[19:20], 0.5
	s_delay_alu instid0(VALU_DEP_4) | instskip(SKIP_1) | instid1(VALU_DEP_3)
	v_mul_f64 v[2:3], v[2:3], 0.5
	s_waitcnt vmcnt(1)
	v_mul_f64 v[4:5], v[6:7], v[17:18]
	s_delay_alu instid0(VALU_DEP_2) | instskip(SKIP_1) | instid1(VALU_DEP_3)
	v_fma_f64 v[19:20], v[8:9], v[17:18], v[2:3]
	v_fma_f64 v[17:18], v[8:9], v[17:18], -v[2:3]
	v_fma_f64 v[21:22], v[0:1], 0.5, v[4:5]
	v_fma_f64 v[4:5], v[0:1], 0.5, -v[4:5]
	s_delay_alu instid0(VALU_DEP_4) | instskip(NEXT) | instid1(VALU_DEP_4)
	v_fma_f64 v[2:3], -v[15:16], v[6:7], v[19:20]
	v_fma_f64 v[6:7], -v[15:16], v[6:7], v[17:18]
	s_delay_alu instid0(VALU_DEP_4) | instskip(NEXT) | instid1(VALU_DEP_4)
	v_fma_f64 v[0:1], v[8:9], v[15:16], v[21:22]
	v_fma_f64 v[4:5], -v[8:9], v[15:16], v[4:5]
	v_lshlrev_b64 v[8:9], 4, v[104:105]
	v_mov_b32_e32 v104, v102
	s_delay_alu instid0(VALU_DEP_2) | instskip(NEXT) | instid1(VALU_DEP_1)
	v_add_co_u32 v8, s1, s2, v8
	v_add_co_ci_u32_e64 v9, s1, s3, v9, s1
	global_load_b128 v[15:18], v[8:9], off
	ds_store_b128 v120, v[0:3]
	ds_store_b128 v10, v[4:7] offset:14336
	ds_load_b128 v[0:3], v119
	ds_load_b128 v[4:7], v10 offset:13440
	s_waitcnt lgkmcnt(0)
	v_add_f64 v[8:9], v[0:1], -v[4:5]
	v_add_f64 v[19:20], v[2:3], v[6:7]
	v_add_f64 v[2:3], v[2:3], -v[6:7]
	v_add_f64 v[0:1], v[0:1], v[4:5]
	s_delay_alu instid0(VALU_DEP_4) | instskip(NEXT) | instid1(VALU_DEP_4)
	v_mul_f64 v[6:7], v[8:9], 0.5
	v_mul_f64 v[8:9], v[19:20], 0.5
	s_delay_alu instid0(VALU_DEP_4) | instskip(SKIP_1) | instid1(VALU_DEP_3)
	v_mul_f64 v[2:3], v[2:3], 0.5
	s_waitcnt vmcnt(1)
	v_mul_f64 v[4:5], v[6:7], v[13:14]
	s_delay_alu instid0(VALU_DEP_2) | instskip(SKIP_1) | instid1(VALU_DEP_3)
	v_fma_f64 v[19:20], v[8:9], v[13:14], v[2:3]
	v_fma_f64 v[13:14], v[8:9], v[13:14], -v[2:3]
	v_fma_f64 v[21:22], v[0:1], 0.5, v[4:5]
	v_fma_f64 v[4:5], v[0:1], 0.5, -v[4:5]
	s_delay_alu instid0(VALU_DEP_4) | instskip(NEXT) | instid1(VALU_DEP_4)
	v_fma_f64 v[2:3], -v[11:12], v[6:7], v[19:20]
	v_fma_f64 v[6:7], -v[11:12], v[6:7], v[13:14]
	s_delay_alu instid0(VALU_DEP_4) | instskip(NEXT) | instid1(VALU_DEP_4)
	v_fma_f64 v[0:1], v[8:9], v[11:12], v[21:22]
	v_fma_f64 v[4:5], -v[8:9], v[11:12], v[4:5]
	v_lshlrev_b64 v[8:9], 4, v[106:107]
	s_delay_alu instid0(VALU_DEP_1) | instskip(NEXT) | instid1(VALU_DEP_1)
	v_add_co_u32 v8, s1, s2, v8
	v_add_co_ci_u32_e64 v9, s1, s3, v9, s1
	global_load_b128 v[11:14], v[8:9], off
	ds_store_b128 v119, v[0:3]
	ds_store_b128 v10, v[4:7] offset:13440
	ds_load_b128 v[0:3], v118
	ds_load_b128 v[4:7], v10 offset:12544
	s_waitcnt lgkmcnt(0)
	v_add_f64 v[8:9], v[0:1], -v[4:5]
	v_add_f64 v[19:20], v[2:3], v[6:7]
	v_add_f64 v[2:3], v[2:3], -v[6:7]
	v_add_f64 v[0:1], v[0:1], v[4:5]
	s_delay_alu instid0(VALU_DEP_4) | instskip(NEXT) | instid1(VALU_DEP_4)
	v_mul_f64 v[6:7], v[8:9], 0.5
	v_mul_f64 v[8:9], v[19:20], 0.5
	s_delay_alu instid0(VALU_DEP_4) | instskip(SKIP_1) | instid1(VALU_DEP_3)
	v_mul_f64 v[2:3], v[2:3], 0.5
	s_waitcnt vmcnt(1)
	v_mul_f64 v[4:5], v[6:7], v[17:18]
	s_delay_alu instid0(VALU_DEP_2) | instskip(SKIP_1) | instid1(VALU_DEP_3)
	v_fma_f64 v[19:20], v[8:9], v[17:18], v[2:3]
	v_fma_f64 v[17:18], v[8:9], v[17:18], -v[2:3]
	v_fma_f64 v[21:22], v[0:1], 0.5, v[4:5]
	v_fma_f64 v[4:5], v[0:1], 0.5, -v[4:5]
	s_delay_alu instid0(VALU_DEP_4) | instskip(NEXT) | instid1(VALU_DEP_4)
	v_fma_f64 v[2:3], -v[15:16], v[6:7], v[19:20]
	v_fma_f64 v[6:7], -v[15:16], v[6:7], v[17:18]
	s_delay_alu instid0(VALU_DEP_4) | instskip(NEXT) | instid1(VALU_DEP_4)
	v_fma_f64 v[0:1], v[8:9], v[15:16], v[21:22]
	v_fma_f64 v[4:5], -v[8:9], v[15:16], v[4:5]
	v_lshlrev_b64 v[8:9], 4, v[103:104]
	s_delay_alu instid0(VALU_DEP_1) | instskip(NEXT) | instid1(VALU_DEP_1)
	v_add_co_u32 v8, s1, s2, v8
	v_add_co_ci_u32_e64 v9, s1, s3, v9, s1
	global_load_b128 v[15:18], v[8:9], off
	ds_store_b128 v118, v[0:3]
	ds_store_b128 v10, v[4:7] offset:12544
	ds_load_b128 v[0:3], v117
	ds_load_b128 v[4:7], v10 offset:11648
	s_waitcnt lgkmcnt(0)
	v_add_f64 v[8:9], v[0:1], -v[4:5]
	v_add_f64 v[19:20], v[2:3], v[6:7]
	v_add_f64 v[2:3], v[2:3], -v[6:7]
	v_add_f64 v[0:1], v[0:1], v[4:5]
	s_delay_alu instid0(VALU_DEP_4) | instskip(NEXT) | instid1(VALU_DEP_4)
	v_mul_f64 v[6:7], v[8:9], 0.5
	v_mul_f64 v[8:9], v[19:20], 0.5
	s_delay_alu instid0(VALU_DEP_4) | instskip(SKIP_1) | instid1(VALU_DEP_3)
	v_mul_f64 v[2:3], v[2:3], 0.5
	s_waitcnt vmcnt(1)
	v_mul_f64 v[4:5], v[6:7], v[13:14]
	s_delay_alu instid0(VALU_DEP_2) | instskip(SKIP_1) | instid1(VALU_DEP_3)
	v_fma_f64 v[19:20], v[8:9], v[13:14], v[2:3]
	v_fma_f64 v[13:14], v[8:9], v[13:14], -v[2:3]
	v_fma_f64 v[21:22], v[0:1], 0.5, v[4:5]
	v_fma_f64 v[4:5], v[0:1], 0.5, -v[4:5]
	s_delay_alu instid0(VALU_DEP_4) | instskip(NEXT) | instid1(VALU_DEP_4)
	v_fma_f64 v[2:3], -v[11:12], v[6:7], v[19:20]
	v_fma_f64 v[6:7], -v[11:12], v[6:7], v[13:14]
	s_delay_alu instid0(VALU_DEP_4) | instskip(NEXT) | instid1(VALU_DEP_4)
	v_fma_f64 v[0:1], v[8:9], v[11:12], v[21:22]
	v_fma_f64 v[4:5], -v[8:9], v[11:12], v[4:5]
	ds_store_b128 v117, v[0:3]
	ds_store_b128 v10, v[4:7] offset:11648
	ds_load_b128 v[0:3], v116
	ds_load_b128 v[4:7], v10 offset:10752
	s_waitcnt lgkmcnt(0)
	v_add_f64 v[8:9], v[0:1], -v[4:5]
	v_add_f64 v[11:12], v[2:3], v[6:7]
	v_add_f64 v[2:3], v[2:3], -v[6:7]
	v_add_f64 v[0:1], v[0:1], v[4:5]
	s_delay_alu instid0(VALU_DEP_4) | instskip(NEXT) | instid1(VALU_DEP_4)
	v_mul_f64 v[6:7], v[8:9], 0.5
	v_mul_f64 v[8:9], v[11:12], 0.5
	s_delay_alu instid0(VALU_DEP_4) | instskip(SKIP_1) | instid1(VALU_DEP_3)
	v_mul_f64 v[2:3], v[2:3], 0.5
	s_waitcnt vmcnt(0)
	v_mul_f64 v[4:5], v[6:7], v[17:18]
	s_delay_alu instid0(VALU_DEP_2) | instskip(SKIP_1) | instid1(VALU_DEP_3)
	v_fma_f64 v[11:12], v[8:9], v[17:18], v[2:3]
	v_fma_f64 v[13:14], v[8:9], v[17:18], -v[2:3]
	v_fma_f64 v[17:18], v[0:1], 0.5, v[4:5]
	v_fma_f64 v[4:5], v[0:1], 0.5, -v[4:5]
	s_delay_alu instid0(VALU_DEP_4) | instskip(NEXT) | instid1(VALU_DEP_4)
	v_fma_f64 v[2:3], -v[15:16], v[6:7], v[11:12]
	v_fma_f64 v[6:7], -v[15:16], v[6:7], v[13:14]
	s_delay_alu instid0(VALU_DEP_4) | instskip(NEXT) | instid1(VALU_DEP_4)
	v_fma_f64 v[0:1], v[8:9], v[15:16], v[17:18]
	v_fma_f64 v[4:5], -v[8:9], v[15:16], v[4:5]
	ds_store_b128 v116, v[0:3]
	ds_store_b128 v10, v[4:7] offset:10752
	s_and_saveexec_b32 s1, s0
	s_cbranch_execz .LBB0_29
; %bb.28:
	v_mov_b32_e32 v101, v102
	s_delay_alu instid0(VALU_DEP_1) | instskip(NEXT) | instid1(VALU_DEP_1)
	v_lshlrev_b64 v[0:1], 4, v[100:101]
	v_add_co_u32 v0, s0, s2, v0
	s_delay_alu instid0(VALU_DEP_1)
	v_add_co_ci_u32_e64 v1, s0, s3, v1, s0
	global_load_b128 v[0:3], v[0:1], off
	ds_load_b128 v[4:7], v95
	ds_load_b128 v[11:14], v10 offset:9856
	s_waitcnt lgkmcnt(0)
	v_add_f64 v[8:9], v[4:5], -v[11:12]
	v_add_f64 v[15:16], v[6:7], v[13:14]
	v_add_f64 v[6:7], v[6:7], -v[13:14]
	v_add_f64 v[4:5], v[4:5], v[11:12]
	s_delay_alu instid0(VALU_DEP_4) | instskip(NEXT) | instid1(VALU_DEP_4)
	v_mul_f64 v[8:9], v[8:9], 0.5
	v_mul_f64 v[13:14], v[15:16], 0.5
	s_delay_alu instid0(VALU_DEP_4) | instskip(SKIP_1) | instid1(VALU_DEP_3)
	v_mul_f64 v[6:7], v[6:7], 0.5
	s_waitcnt vmcnt(0)
	v_mul_f64 v[11:12], v[8:9], v[2:3]
	s_delay_alu instid0(VALU_DEP_2) | instskip(SKIP_1) | instid1(VALU_DEP_3)
	v_fma_f64 v[15:16], v[13:14], v[2:3], v[6:7]
	v_fma_f64 v[2:3], v[13:14], v[2:3], -v[6:7]
	v_fma_f64 v[6:7], v[4:5], 0.5, v[11:12]
	v_fma_f64 v[11:12], v[4:5], 0.5, -v[11:12]
	s_delay_alu instid0(VALU_DEP_4) | instskip(NEXT) | instid1(VALU_DEP_4)
	v_fma_f64 v[4:5], -v[0:1], v[8:9], v[15:16]
	v_fma_f64 v[8:9], -v[0:1], v[8:9], v[2:3]
	s_delay_alu instid0(VALU_DEP_4) | instskip(NEXT) | instid1(VALU_DEP_4)
	v_fma_f64 v[2:3], v[13:14], v[0:1], v[6:7]
	v_fma_f64 v[6:7], -v[13:14], v[0:1], v[11:12]
	ds_store_b128 v95, v[2:5]
	ds_store_b128 v10, v[6:9] offset:9856
.LBB0_29:
	s_or_b32 exec_lo, exec_lo, s1
	s_waitcnt lgkmcnt(0)
	s_barrier
	buffer_gl0_inv
	s_and_saveexec_b32 s0, vcc_lo
	s_cbranch_execz .LBB0_32
; %bb.30:
	v_mov_b32_e32 v93, 0
	ds_load_b128 v[2:5], v113
	ds_load_b128 v[6:9], v113 offset:896
	ds_load_b128 v[10:13], v113 offset:1792
	ds_load_b128 v[14:17], v113 offset:2688
	v_add_co_u32 v0, vcc_lo, s8, v98
	v_add_co_ci_u32_e32 v1, vcc_lo, s9, v99, vcc_lo
	v_lshlrev_b64 v[18:19], 4, v[92:93]
	v_mov_b32_e32 v95, v93
	v_mov_b32_e32 v97, v93
	s_delay_alu instid0(VALU_DEP_3) | instskip(NEXT) | instid1(VALU_DEP_4)
	v_add_co_u32 v46, vcc_lo, v0, v18
	v_add_co_ci_u32_e32 v47, vcc_lo, v1, v19, vcc_lo
	ds_load_b128 v[18:21], v113 offset:3584
	ds_load_b128 v[22:25], v113 offset:4480
	;; [unrolled: 1-line block ×6, first 2 shown]
	s_waitcnt lgkmcnt(9)
	global_store_b128 v[46:47], v[2:5], off
	s_waitcnt lgkmcnt(8)
	global_store_b128 v[46:47], v[6:9], off offset:896
	s_waitcnt lgkmcnt(7)
	global_store_b128 v[46:47], v[10:13], off offset:1792
	;; [unrolled: 2-line block ×3, first 2 shown]
	v_lshlrev_b64 v[2:3], 4, v[94:95]
	v_add_co_u32 v4, vcc_lo, 0x1000, v46
	v_add_co_ci_u32_e32 v5, vcc_lo, 0, v47, vcc_lo
	s_delay_alu instid0(VALU_DEP_3) | instskip(NEXT) | instid1(VALU_DEP_4)
	v_add_co_u32 v2, vcc_lo, v0, v2
	v_add_co_ci_u32_e32 v3, vcc_lo, v1, v3, vcc_lo
	v_add_co_u32 v48, vcc_lo, 0x2000, v46
	s_waitcnt lgkmcnt(5)
	global_store_b128 v[46:47], v[18:21], off offset:3584
	s_waitcnt lgkmcnt(4)
	global_store_b128 v[4:5], v[22:25], off offset:384
	;; [unrolled: 2-line block ×4, first 2 shown]
	s_waitcnt lgkmcnt(1)
	global_store_b128 v[2:3], v[34:37], off
	s_waitcnt lgkmcnt(0)
	global_store_b128 v[4:5], v[38:41], off offset:3968
	ds_load_b128 v[2:5], v113 offset:8960
	ds_load_b128 v[6:9], v113 offset:9856
	ds_load_b128 v[10:13], v113 offset:10752
	ds_load_b128 v[14:17], v113 offset:11648
	ds_load_b128 v[18:21], v113 offset:12544
	ds_load_b128 v[22:25], v113 offset:13440
	v_add_co_ci_u32_e32 v49, vcc_lo, 0, v47, vcc_lo
	ds_load_b128 v[26:29], v113 offset:14336
	ds_load_b128 v[30:33], v113 offset:15232
	;; [unrolled: 1-line block ×5, first 2 shown]
	v_add_co_u32 v50, vcc_lo, 0x3000, v46
	v_add_co_ci_u32_e32 v51, vcc_lo, 0, v47, vcc_lo
	s_waitcnt lgkmcnt(10)
	global_store_b128 v[48:49], v[2:5], off offset:768
	s_waitcnt lgkmcnt(9)
	global_store_b128 v[48:49], v[6:9], off offset:1664
	v_lshlrev_b64 v[2:3], 4, v[96:97]
	s_waitcnt lgkmcnt(8)
	global_store_b128 v[48:49], v[10:13], off offset:2560
	s_waitcnt lgkmcnt(7)
	global_store_b128 v[48:49], v[14:17], off offset:3456
	;; [unrolled: 2-line block ×4, first 2 shown]
	v_add_co_u32 v2, vcc_lo, v0, v2
	v_add_co_ci_u32_e32 v3, vcc_lo, v1, v3, vcc_lo
	v_add_co_u32 v4, vcc_lo, 0x4000, v46
	v_add_co_ci_u32_e32 v5, vcc_lo, 0, v47, vcc_lo
	v_cmp_eq_u32_e32 vcc_lo, 55, v92
	s_waitcnt lgkmcnt(3)
	global_store_b128 v[50:51], v[30:33], off offset:2944
	s_waitcnt lgkmcnt(2)
	s_clause 0x1
	global_store_b128 v[50:51], v[34:37], off offset:3840
	global_store_b128 v[2:3], v[26:29], off
	s_waitcnt lgkmcnt(1)
	global_store_b128 v[4:5], v[38:41], off offset:640
	s_waitcnt lgkmcnt(0)
	global_store_b128 v[4:5], v[42:45], off offset:1536
	s_and_b32 exec_lo, exec_lo, vcc_lo
	s_cbranch_execz .LBB0_32
; %bb.31:
	ds_load_b128 v[2:5], v93 offset:18816
	v_add_co_u32 v0, vcc_lo, 0x4000, v0
	v_add_co_ci_u32_e32 v1, vcc_lo, 0, v1, vcc_lo
	s_waitcnt lgkmcnt(0)
	global_store_b128 v[0:1], v[2:5], off offset:2432
.LBB0_32:
	s_nop 0
	s_sendmsg sendmsg(MSG_DEALLOC_VGPRS)
	s_endpgm
	.section	.rodata,"a",@progbits
	.p2align	6, 0x0
	.amdhsa_kernel fft_rtc_fwd_len1176_factors_2_2_2_3_7_7_wgs_56_tpt_56_halfLds_dp_ip_CI_unitstride_sbrr_R2C_dirReg
		.amdhsa_group_segment_fixed_size 0
		.amdhsa_private_segment_fixed_size 0
		.amdhsa_kernarg_size 88
		.amdhsa_user_sgpr_count 15
		.amdhsa_user_sgpr_dispatch_ptr 0
		.amdhsa_user_sgpr_queue_ptr 0
		.amdhsa_user_sgpr_kernarg_segment_ptr 1
		.amdhsa_user_sgpr_dispatch_id 0
		.amdhsa_user_sgpr_private_segment_size 0
		.amdhsa_wavefront_size32 1
		.amdhsa_uses_dynamic_stack 0
		.amdhsa_enable_private_segment 0
		.amdhsa_system_sgpr_workgroup_id_x 1
		.amdhsa_system_sgpr_workgroup_id_y 0
		.amdhsa_system_sgpr_workgroup_id_z 0
		.amdhsa_system_sgpr_workgroup_info 0
		.amdhsa_system_vgpr_workitem_id 0
		.amdhsa_next_free_vgpr 188
		.amdhsa_next_free_sgpr 26
		.amdhsa_reserve_vcc 1
		.amdhsa_float_round_mode_32 0
		.amdhsa_float_round_mode_16_64 0
		.amdhsa_float_denorm_mode_32 3
		.amdhsa_float_denorm_mode_16_64 3
		.amdhsa_dx10_clamp 1
		.amdhsa_ieee_mode 1
		.amdhsa_fp16_overflow 0
		.amdhsa_workgroup_processor_mode 1
		.amdhsa_memory_ordered 1
		.amdhsa_forward_progress 0
		.amdhsa_shared_vgpr_count 0
		.amdhsa_exception_fp_ieee_invalid_op 0
		.amdhsa_exception_fp_denorm_src 0
		.amdhsa_exception_fp_ieee_div_zero 0
		.amdhsa_exception_fp_ieee_overflow 0
		.amdhsa_exception_fp_ieee_underflow 0
		.amdhsa_exception_fp_ieee_inexact 0
		.amdhsa_exception_int_div_zero 0
	.end_amdhsa_kernel
	.text
.Lfunc_end0:
	.size	fft_rtc_fwd_len1176_factors_2_2_2_3_7_7_wgs_56_tpt_56_halfLds_dp_ip_CI_unitstride_sbrr_R2C_dirReg, .Lfunc_end0-fft_rtc_fwd_len1176_factors_2_2_2_3_7_7_wgs_56_tpt_56_halfLds_dp_ip_CI_unitstride_sbrr_R2C_dirReg
                                        ; -- End function
	.section	.AMDGPU.csdata,"",@progbits
; Kernel info:
; codeLenInByte = 17796
; NumSgprs: 28
; NumVgprs: 188
; ScratchSize: 0
; MemoryBound: 0
; FloatMode: 240
; IeeeMode: 1
; LDSByteSize: 0 bytes/workgroup (compile time only)
; SGPRBlocks: 3
; VGPRBlocks: 23
; NumSGPRsForWavesPerEU: 28
; NumVGPRsForWavesPerEU: 188
; Occupancy: 8
; WaveLimiterHint : 1
; COMPUTE_PGM_RSRC2:SCRATCH_EN: 0
; COMPUTE_PGM_RSRC2:USER_SGPR: 15
; COMPUTE_PGM_RSRC2:TRAP_HANDLER: 0
; COMPUTE_PGM_RSRC2:TGID_X_EN: 1
; COMPUTE_PGM_RSRC2:TGID_Y_EN: 0
; COMPUTE_PGM_RSRC2:TGID_Z_EN: 0
; COMPUTE_PGM_RSRC2:TIDIG_COMP_CNT: 0
	.text
	.p2alignl 7, 3214868480
	.fill 96, 4, 3214868480
	.type	__hip_cuid_f5c1a1e9d2cb469d,@object ; @__hip_cuid_f5c1a1e9d2cb469d
	.section	.bss,"aw",@nobits
	.globl	__hip_cuid_f5c1a1e9d2cb469d
__hip_cuid_f5c1a1e9d2cb469d:
	.byte	0                               ; 0x0
	.size	__hip_cuid_f5c1a1e9d2cb469d, 1

	.ident	"AMD clang version 19.0.0git (https://github.com/RadeonOpenCompute/llvm-project roc-6.4.0 25133 c7fe45cf4b819c5991fe208aaa96edf142730f1d)"
	.section	".note.GNU-stack","",@progbits
	.addrsig
	.addrsig_sym __hip_cuid_f5c1a1e9d2cb469d
	.amdgpu_metadata
---
amdhsa.kernels:
  - .args:
      - .actual_access:  read_only
        .address_space:  global
        .offset:         0
        .size:           8
        .value_kind:     global_buffer
      - .offset:         8
        .size:           8
        .value_kind:     by_value
      - .actual_access:  read_only
        .address_space:  global
        .offset:         16
        .size:           8
        .value_kind:     global_buffer
      - .actual_access:  read_only
        .address_space:  global
        .offset:         24
        .size:           8
        .value_kind:     global_buffer
      - .offset:         32
        .size:           8
        .value_kind:     by_value
      - .actual_access:  read_only
        .address_space:  global
        .offset:         40
        .size:           8
        .value_kind:     global_buffer
      - .actual_access:  read_only
        .address_space:  global
        .offset:         48
        .size:           8
        .value_kind:     global_buffer
      - .offset:         56
        .size:           4
        .value_kind:     by_value
      - .actual_access:  read_only
        .address_space:  global
        .offset:         64
        .size:           8
        .value_kind:     global_buffer
      - .actual_access:  read_only
        .address_space:  global
        .offset:         72
        .size:           8
        .value_kind:     global_buffer
      - .address_space:  global
        .offset:         80
        .size:           8
        .value_kind:     global_buffer
    .group_segment_fixed_size: 0
    .kernarg_segment_align: 8
    .kernarg_segment_size: 88
    .language:       OpenCL C
    .language_version:
      - 2
      - 0
    .max_flat_workgroup_size: 56
    .name:           fft_rtc_fwd_len1176_factors_2_2_2_3_7_7_wgs_56_tpt_56_halfLds_dp_ip_CI_unitstride_sbrr_R2C_dirReg
    .private_segment_fixed_size: 0
    .sgpr_count:     28
    .sgpr_spill_count: 0
    .symbol:         fft_rtc_fwd_len1176_factors_2_2_2_3_7_7_wgs_56_tpt_56_halfLds_dp_ip_CI_unitstride_sbrr_R2C_dirReg.kd
    .uniform_work_group_size: 1
    .uses_dynamic_stack: false
    .vgpr_count:     188
    .vgpr_spill_count: 0
    .wavefront_size: 32
    .workgroup_processor_mode: 1
amdhsa.target:   amdgcn-amd-amdhsa--gfx1100
amdhsa.version:
  - 1
  - 2
...

	.end_amdgpu_metadata
